;; amdgpu-corpus repo=ROCm/rocFFT kind=compiled arch=gfx950 opt=O3
	.text
	.amdgcn_target "amdgcn-amd-amdhsa--gfx950"
	.amdhsa_code_object_version 6
	.protected	fft_rtc_back_len572_factors_13_11_4_wgs_52_tpt_52_sp_op_CI_CI_unitstride_sbrr_C2R_dirReg ; -- Begin function fft_rtc_back_len572_factors_13_11_4_wgs_52_tpt_52_sp_op_CI_CI_unitstride_sbrr_C2R_dirReg
	.globl	fft_rtc_back_len572_factors_13_11_4_wgs_52_tpt_52_sp_op_CI_CI_unitstride_sbrr_C2R_dirReg
	.p2align	8
	.type	fft_rtc_back_len572_factors_13_11_4_wgs_52_tpt_52_sp_op_CI_CI_unitstride_sbrr_C2R_dirReg,@function
fft_rtc_back_len572_factors_13_11_4_wgs_52_tpt_52_sp_op_CI_CI_unitstride_sbrr_C2R_dirReg: ; @fft_rtc_back_len572_factors_13_11_4_wgs_52_tpt_52_sp_op_CI_CI_unitstride_sbrr_C2R_dirReg
; %bb.0:
	s_load_dwordx4 s[4:7], s[0:1], 0x58
	s_load_dwordx4 s[8:11], s[0:1], 0x0
	;; [unrolled: 1-line block ×3, first 2 shown]
	v_mul_u32_u24_e32 v1, 0x4ed, v0
	v_add_u32_sdwa v6, s2, v1 dst_sel:DWORD dst_unused:UNUSED_PAD src0_sel:DWORD src1_sel:WORD_1
	v_mov_b32_e32 v4, 0
	s_waitcnt lgkmcnt(0)
	v_cmp_lt_u64_e64 s[2:3], s[10:11], 2
	v_mov_b32_e32 v7, v4
	s_and_b64 vcc, exec, s[2:3]
	v_mov_b64_e32 v[2:3], 0
	s_cbranch_vccnz .LBB0_8
; %bb.1:
	s_load_dwordx2 s[2:3], s[0:1], 0x10
	s_add_u32 s16, s14, 8
	s_addc_u32 s17, s15, 0
	s_add_u32 s18, s12, 8
	s_addc_u32 s19, s13, 0
	s_waitcnt lgkmcnt(0)
	s_add_u32 s20, s2, 8
	v_mov_b64_e32 v[2:3], 0
	s_addc_u32 s21, s3, 0
	s_mov_b64 s[22:23], 1
	v_mov_b64_e32 v[28:29], v[2:3]
.LBB0_2:                                ; =>This Inner Loop Header: Depth=1
	s_load_dwordx2 s[24:25], s[20:21], 0x0
                                        ; implicit-def: $vgpr30_vgpr31
	s_waitcnt lgkmcnt(0)
	v_or_b32_e32 v5, s25, v7
	v_cmp_ne_u64_e32 vcc, 0, v[4:5]
	s_and_saveexec_b64 s[2:3], vcc
	s_xor_b64 s[26:27], exec, s[2:3]
	s_cbranch_execz .LBB0_4
; %bb.3:                                ;   in Loop: Header=BB0_2 Depth=1
	v_cvt_f32_u32_e32 v1, s24
	v_cvt_f32_u32_e32 v5, s25
	s_sub_u32 s2, 0, s24
	s_subb_u32 s3, 0, s25
	v_fmac_f32_e32 v1, 0x4f800000, v5
	v_rcp_f32_e32 v1, v1
	s_nop 0
	v_mul_f32_e32 v1, 0x5f7ffffc, v1
	v_mul_f32_e32 v5, 0x2f800000, v1
	v_trunc_f32_e32 v5, v5
	v_fmac_f32_e32 v1, 0xcf800000, v5
	v_cvt_u32_f32_e32 v5, v5
	v_cvt_u32_f32_e32 v1, v1
	v_mul_lo_u32 v8, s2, v5
	v_mul_hi_u32 v10, s2, v1
	v_mul_lo_u32 v9, s3, v1
	v_add_u32_e32 v10, v10, v8
	v_mul_lo_u32 v12, s2, v1
	v_add_u32_e32 v13, v10, v9
	v_mul_hi_u32 v8, v1, v12
	v_mul_hi_u32 v11, v1, v13
	v_mul_lo_u32 v10, v1, v13
	v_mov_b32_e32 v9, v4
	v_lshl_add_u64 v[8:9], v[8:9], 0, v[10:11]
	v_mul_hi_u32 v11, v5, v12
	v_mul_lo_u32 v12, v5, v12
	v_add_co_u32_e32 v8, vcc, v8, v12
	v_mul_hi_u32 v10, v5, v13
	s_nop 0
	v_addc_co_u32_e32 v8, vcc, v9, v11, vcc
	v_mov_b32_e32 v9, v4
	s_nop 0
	v_addc_co_u32_e32 v11, vcc, 0, v10, vcc
	v_mul_lo_u32 v10, v5, v13
	v_lshl_add_u64 v[8:9], v[8:9], 0, v[10:11]
	v_add_co_u32_e32 v1, vcc, v1, v8
	v_mul_lo_u32 v10, s2, v1
	s_nop 0
	v_addc_co_u32_e32 v5, vcc, v5, v9, vcc
	v_mul_lo_u32 v8, s2, v5
	v_mul_hi_u32 v9, s2, v1
	v_add_u32_e32 v8, v9, v8
	v_mul_lo_u32 v9, s3, v1
	v_add_u32_e32 v12, v8, v9
	v_mul_hi_u32 v14, v5, v10
	v_mul_lo_u32 v15, v5, v10
	v_mul_hi_u32 v9, v1, v12
	v_mul_lo_u32 v8, v1, v12
	v_mul_hi_u32 v10, v1, v10
	v_mov_b32_e32 v11, v4
	v_lshl_add_u64 v[8:9], v[10:11], 0, v[8:9]
	v_add_co_u32_e32 v8, vcc, v8, v15
	v_mul_hi_u32 v13, v5, v12
	s_nop 0
	v_addc_co_u32_e32 v8, vcc, v9, v14, vcc
	v_mul_lo_u32 v10, v5, v12
	s_nop 0
	v_addc_co_u32_e32 v11, vcc, 0, v13, vcc
	v_mov_b32_e32 v9, v4
	v_lshl_add_u64 v[8:9], v[8:9], 0, v[10:11]
	v_add_co_u32_e32 v1, vcc, v1, v8
	v_mul_hi_u32 v10, v6, v1
	s_nop 0
	v_addc_co_u32_e32 v5, vcc, v5, v9, vcc
	v_mad_u64_u32 v[8:9], s[2:3], v6, v5, 0
	v_mov_b32_e32 v11, v4
	v_lshl_add_u64 v[8:9], v[10:11], 0, v[8:9]
	v_mad_u64_u32 v[12:13], s[2:3], v7, v1, 0
	v_add_co_u32_e32 v1, vcc, v8, v12
	v_mad_u64_u32 v[10:11], s[2:3], v7, v5, 0
	s_nop 0
	v_addc_co_u32_e32 v8, vcc, v9, v13, vcc
	v_mov_b32_e32 v9, v4
	s_nop 0
	v_addc_co_u32_e32 v11, vcc, 0, v11, vcc
	v_lshl_add_u64 v[8:9], v[8:9], 0, v[10:11]
	v_mul_lo_u32 v1, s25, v8
	v_mul_lo_u32 v5, s24, v9
	v_mad_u64_u32 v[10:11], s[2:3], s24, v8, 0
	v_add3_u32 v1, v11, v5, v1
	v_sub_u32_e32 v5, v7, v1
	v_mov_b32_e32 v11, s25
	v_sub_co_u32_e32 v14, vcc, v6, v10
	v_lshl_add_u64 v[12:13], v[8:9], 0, 1
	s_nop 0
	v_subb_co_u32_e64 v5, s[2:3], v5, v11, vcc
	v_subrev_co_u32_e64 v10, s[2:3], s24, v14
	v_subb_co_u32_e32 v1, vcc, v7, v1, vcc
	s_nop 0
	v_subbrev_co_u32_e64 v5, s[2:3], 0, v5, s[2:3]
	v_cmp_le_u32_e64 s[2:3], s25, v5
	v_cmp_le_u32_e32 vcc, s25, v1
	s_nop 0
	v_cndmask_b32_e64 v11, 0, -1, s[2:3]
	v_cmp_le_u32_e64 s[2:3], s24, v10
	s_nop 1
	v_cndmask_b32_e64 v10, 0, -1, s[2:3]
	v_cmp_eq_u32_e64 s[2:3], s25, v5
	s_nop 1
	v_cndmask_b32_e64 v5, v11, v10, s[2:3]
	v_lshl_add_u64 v[10:11], v[8:9], 0, 2
	v_cmp_ne_u32_e64 s[2:3], 0, v5
	s_nop 1
	v_cndmask_b32_e64 v5, v13, v11, s[2:3]
	v_cndmask_b32_e64 v11, 0, -1, vcc
	v_cmp_le_u32_e32 vcc, s24, v14
	s_nop 1
	v_cndmask_b32_e64 v13, 0, -1, vcc
	v_cmp_eq_u32_e32 vcc, s25, v1
	s_nop 1
	v_cndmask_b32_e32 v1, v11, v13, vcc
	v_cmp_ne_u32_e32 vcc, 0, v1
	v_cndmask_b32_e64 v1, v12, v10, s[2:3]
	s_nop 0
	v_cndmask_b32_e32 v31, v9, v5, vcc
	v_cndmask_b32_e32 v30, v8, v1, vcc
.LBB0_4:                                ;   in Loop: Header=BB0_2 Depth=1
	s_andn2_saveexec_b64 s[2:3], s[26:27]
	s_cbranch_execz .LBB0_6
; %bb.5:                                ;   in Loop: Header=BB0_2 Depth=1
	v_cvt_f32_u32_e32 v1, s24
	s_sub_i32 s26, 0, s24
	v_mov_b32_e32 v31, v4
	v_rcp_iflag_f32_e32 v1, v1
	s_nop 0
	v_mul_f32_e32 v1, 0x4f7ffffe, v1
	v_cvt_u32_f32_e32 v1, v1
	v_mul_lo_u32 v5, s26, v1
	v_mul_hi_u32 v5, v1, v5
	v_add_u32_e32 v1, v1, v5
	v_mul_hi_u32 v1, v6, v1
	v_mul_lo_u32 v5, v1, s24
	v_sub_u32_e32 v5, v6, v5
	v_add_u32_e32 v8, 1, v1
	v_subrev_u32_e32 v9, s24, v5
	v_cmp_le_u32_e32 vcc, s24, v5
	s_nop 1
	v_cndmask_b32_e32 v5, v5, v9, vcc
	v_cndmask_b32_e32 v1, v1, v8, vcc
	v_add_u32_e32 v8, 1, v1
	v_cmp_le_u32_e32 vcc, s24, v5
	s_nop 1
	v_cndmask_b32_e32 v30, v1, v8, vcc
.LBB0_6:                                ;   in Loop: Header=BB0_2 Depth=1
	s_or_b64 exec, exec, s[2:3]
	v_mad_u64_u32 v[8:9], s[2:3], v30, s24, 0
	s_load_dwordx2 s[2:3], s[18:19], 0x0
	v_mul_lo_u32 v1, v31, s24
	v_mul_lo_u32 v5, v30, s25
	s_load_dwordx2 s[24:25], s[16:17], 0x0
	s_add_u32 s22, s22, 1
	v_add3_u32 v1, v9, v5, v1
	v_sub_co_u32_e32 v5, vcc, v6, v8
	s_addc_u32 s23, s23, 0
	s_nop 0
	v_subb_co_u32_e32 v1, vcc, v7, v1, vcc
	s_add_u32 s16, s16, 8
	s_waitcnt lgkmcnt(0)
	v_mul_lo_u32 v6, s2, v1
	v_mul_lo_u32 v7, s3, v5
	v_mad_u64_u32 v[2:3], s[2:3], s2, v5, v[2:3]
	s_addc_u32 s17, s17, 0
	v_add3_u32 v3, v7, v3, v6
	v_mul_lo_u32 v1, s24, v1
	v_mul_lo_u32 v6, s25, v5
	v_mad_u64_u32 v[28:29], s[2:3], s24, v5, v[28:29]
	s_add_u32 s18, s18, 8
	v_add3_u32 v29, v6, v29, v1
	s_addc_u32 s19, s19, 0
	v_mov_b64_e32 v[6:7], s[10:11]
	s_add_u32 s20, s20, 8
	v_cmp_ge_u64_e32 vcc, s[22:23], v[6:7]
	s_addc_u32 s21, s21, 0
	s_cbranch_vccnz .LBB0_9
; %bb.7:                                ;   in Loop: Header=BB0_2 Depth=1
	v_mov_b64_e32 v[6:7], v[30:31]
	s_branch .LBB0_2
.LBB0_8:
	v_mov_b64_e32 v[28:29], v[2:3]
	v_mov_b64_e32 v[30:31], v[6:7]
.LBB0_9:
	s_load_dwordx2 s[18:19], s[0:1], 0x28
	s_lshl_b64 s[16:17], s[10:11], 3
	s_add_u32 s2, s14, s16
	s_addc_u32 s3, s15, s17
                                        ; implicit-def: $vgpr32
	s_waitcnt lgkmcnt(0)
	v_cmp_gt_u64_e64 s[0:1], s[18:19], v[30:31]
	v_cmp_le_u64_e32 vcc, s[18:19], v[30:31]
	s_and_saveexec_b64 s[10:11], vcc
	s_xor_b64 s[10:11], exec, s[10:11]
; %bb.10:
	s_mov_b32 s14, 0x4ec4ec5
	v_mul_hi_u32 v1, v0, s14
	v_mul_u32_u24_e32 v1, 52, v1
	v_sub_u32_e32 v32, v0, v1
                                        ; implicit-def: $vgpr0
                                        ; implicit-def: $vgpr2_vgpr3
; %bb.11:
	s_or_saveexec_b64 s[10:11], s[10:11]
	s_load_dwordx2 s[2:3], s[2:3], 0x0
	s_xor_b64 exec, exec, s[10:11]
	s_cbranch_execz .LBB0_15
; %bb.12:
	s_add_u32 s12, s12, s16
	s_addc_u32 s13, s13, s17
	s_load_dwordx2 s[12:13], s[12:13], 0x0
	s_mov_b32 s14, 0x4ec4ec5
	s_waitcnt lgkmcnt(0)
	v_mul_lo_u32 v1, s13, v30
	v_mul_lo_u32 v6, s12, v31
	v_mad_u64_u32 v[4:5], s[12:13], s12, v30, 0
	v_add3_u32 v5, v5, v6, v1
	v_mul_hi_u32 v1, v0, s14
	v_mul_u32_u24_e32 v1, 52, v1
	v_sub_u32_e32 v32, v0, v1
	v_lshl_add_u64 v[0:1], v[4:5], 3, s[4:5]
	v_lshl_add_u64 v[2:3], v[2:3], 3, v[0:1]
	v_lshlrev_b32_e32 v0, 3, v32
	v_mov_b32_e32 v1, 0
	v_lshl_add_u64 v[4:5], v[2:3], 0, v[0:1]
	v_add_co_u32_e32 v22, vcc, 0x1000, v4
	global_load_dwordx2 v[6:7], v[4:5], off
	global_load_dwordx2 v[8:9], v[4:5], off offset:416
	global_load_dwordx2 v[10:11], v[4:5], off offset:832
	;; [unrolled: 1-line block ×7, first 2 shown]
	v_addc_co_u32_e32 v23, vcc, 0, v5, vcc
	global_load_dwordx2 v[24:25], v[4:5], off offset:3328
	global_load_dwordx2 v[26:27], v[4:5], off offset:3744
	;; [unrolled: 1-line block ×3, first 2 shown]
	v_add_u32_e32 v0, 0, v0
	v_cmp_eq_u32_e32 vcc, 51, v32
	v_add_u32_e32 v4, 0x400, v0
	v_add_u32_e32 v5, 0x800, v0
	s_waitcnt vmcnt(9)
	ds_write2_b64 v0, v[6:7], v[8:9] offset1:52
	s_waitcnt vmcnt(7)
	ds_write2_b64 v0, v[10:11], v[12:13] offset0:104 offset1:156
	s_waitcnt vmcnt(5)
	ds_write2_b64 v4, v[14:15], v[16:17] offset0:80 offset1:132
	;; [unrolled: 2-line block ×4, first 2 shown]
	s_waitcnt vmcnt(0)
	ds_write_b64 v0, v[34:35] offset:4160
	s_and_saveexec_b64 s[4:5], vcc
	s_cbranch_execz .LBB0_14
; %bb.13:
	v_add_co_u32_e32 v2, vcc, 0x1000, v2
	v_mov_b32_e32 v32, 51
	s_nop 0
	v_addc_co_u32_e32 v3, vcc, 0, v3, vcc
	global_load_dwordx2 v[2:3], v[2:3], off offset:480
	s_waitcnt vmcnt(0)
	ds_write_b64 v1, v[2:3] offset:4576
.LBB0_14:
	s_or_b64 exec, exec, s[4:5]
.LBB0_15:
	s_or_b64 exec, exec, s[10:11]
	v_lshlrev_b32_e32 v0, 3, v32
	v_add_u32_e32 v94, 0, v0
	s_waitcnt lgkmcnt(0)
	; wave barrier
	s_waitcnt lgkmcnt(0)
	v_sub_u32_e32 v4, 0, v0
	ds_read_b32 v1, v94
	ds_read_b32 v2, v4 offset:4576
	s_add_u32 s4, s8, 0x1178
	s_addc_u32 s5, s9, 0
	v_cmp_ne_u32_e32 vcc, 0, v32
	s_waitcnt lgkmcnt(0)
	v_add_f32_e32 v0, v2, v1
	v_sub_f32_e32 v1, v1, v2
                                        ; implicit-def: $vgpr2_vgpr3
	s_and_saveexec_b64 s[10:11], vcc
	s_xor_b64 s[10:11], exec, s[10:11]
	s_cbranch_execz .LBB0_17
; %bb.16:
	v_mov_b32_e32 v33, 0
	v_lshl_add_u64 v[2:3], v[32:33], 3, s[4:5]
	global_load_dwordx2 v[2:3], v[2:3], off
	ds_read_b32 v5, v4 offset:4580
	ds_read_b32 v9, v94 offset:4
	v_mov_b32_e32 v8, v1
	v_mov_b32_e32 v7, v1
	s_waitcnt lgkmcnt(0)
	v_add_f32_e32 v6, v5, v9
	v_sub_f32_e32 v5, v9, v5
	v_mov_b32_e32 v9, v6
	v_mov_b32_e32 v1, v5
	s_waitcnt vmcnt(0)
	v_pk_mul_f32 v[10:11], v[8:9], v[2:3] op_sel:[0,1]
	v_pk_fma_f32 v[8:9], v[8:9], v[2:3], v[0:1] op_sel:[0,1,0]
	v_mov_b32_e32 v1, v11
	v_mov_b32_e32 v11, v5
	v_pk_fma_f32 v[12:13], v[2:3], v[6:7], v[8:9] neg_lo:[1,0,0] neg_hi:[1,0,0]
	v_pk_fma_f32 v[8:9], v[2:3], v[6:7], v[8:9] op_sel_hi:[0,1,1]
	v_pk_add_f32 v[0:1], v[0:1], v[10:11] neg_lo:[0,1] neg_hi:[0,1]
	v_mov_b32_e32 v13, v9
	v_pk_fma_f32 v[0:1], v[2:3], v[6:7], v[0:1] op_sel_hi:[0,1,1]
	ds_write_b64 v94, v[12:13]
	ds_write_b64 v4, v[0:1] offset:4576
	v_mov_b64_e32 v[2:3], v[32:33]
                                        ; implicit-def: $vgpr0
.LBB0_17:
	s_andn2_saveexec_b64 s[10:11], s[10:11]
	s_cbranch_execz .LBB0_19
; %bb.18:
	ds_write_b64 v94, v[0:1]
	v_mov_b32_e32 v2, 0
	ds_read_b64 v[0:1], v2 offset:2288
	s_mov_b32 s12, 2.0
	s_mov_b32 s13, -2.0
	s_waitcnt lgkmcnt(0)
	v_pk_mul_f32 v[0:1], v[0:1], s[12:13]
	ds_write_b64 v2, v[0:1] offset:2288
	v_mov_b64_e32 v[2:3], 0
.LBB0_19:
	s_or_b64 exec, exec, s[10:11]
	v_lshl_add_u64 v[0:1], v[2:3], 3, s[4:5]
	global_load_dwordx2 v[2:3], v[0:1], off offset:416
	global_load_dwordx2 v[6:7], v[0:1], off offset:832
	;; [unrolled: 1-line block ×4, first 2 shown]
	ds_read_b64 v[12:13], v4 offset:4160
	ds_read_b64 v[14:15], v94 offset:416
	v_cmp_gt_u32_e32 vcc, 26, v32
	s_waitcnt lgkmcnt(0)
	v_pk_add_f32 v[16:17], v[14:15], v[12:13]
	v_pk_add_f32 v[12:13], v[14:15], v[12:13] neg_lo:[0,1] neg_hi:[0,1]
	v_mov_b32_e32 v14, v17
	v_mov_b32_e32 v15, v12
	v_mov_b32_e32 v17, v13
	s_waitcnt vmcnt(3)
	v_pk_mul_f32 v[18:19], v[14:15], v[2:3] op_sel:[0,1]
	s_nop 0
	v_pk_add_f32 v[20:21], v[16:17], v[18:19] op_sel:[0,1] op_sel_hi:[1,0]
	v_mov_b32_e32 v17, v18
	v_mov_b32_e32 v12, v19
	v_pk_fma_f32 v[18:19], v[2:3], v[14:15], v[20:21] neg_lo:[1,0,0] neg_hi:[1,0,0]
	v_pk_fma_f32 v[20:21], v[2:3], v[14:15], v[20:21] op_sel_hi:[0,1,1]
	v_pk_add_f32 v[12:13], v[16:17], v[12:13] neg_lo:[0,1] neg_hi:[0,1]
	v_mov_b32_e32 v19, v21
	v_pk_fma_f32 v[2:3], v[2:3], v[14:15], v[12:13] op_sel_hi:[0,1,1]
	ds_write_b64 v94, v[18:19] offset:416
	ds_write_b64 v4, v[2:3] offset:4160
	ds_read_b64 v[2:3], v4 offset:3744
	ds_read_b64 v[12:13], v94 offset:832
	s_waitcnt lgkmcnt(0)
	v_pk_add_f32 v[14:15], v[12:13], v[2:3]
	v_pk_add_f32 v[2:3], v[12:13], v[2:3] neg_lo:[0,1] neg_hi:[0,1]
	v_mov_b32_e32 v12, v15
	v_mov_b32_e32 v13, v2
	v_mov_b32_e32 v15, v3
	s_waitcnt vmcnt(2)
	v_pk_mul_f32 v[16:17], v[12:13], v[6:7] op_sel:[0,1]
	s_nop 0
	v_pk_add_f32 v[18:19], v[14:15], v[16:17] op_sel:[0,1] op_sel_hi:[1,0]
	v_mov_b32_e32 v15, v16
	v_mov_b32_e32 v2, v17
	v_pk_fma_f32 v[16:17], v[6:7], v[12:13], v[18:19] neg_lo:[1,0,0] neg_hi:[1,0,0]
	v_pk_fma_f32 v[18:19], v[6:7], v[12:13], v[18:19] op_sel_hi:[0,1,1]
	v_pk_add_f32 v[2:3], v[14:15], v[2:3] neg_lo:[0,1] neg_hi:[0,1]
	v_mov_b32_e32 v17, v19
	v_pk_fma_f32 v[2:3], v[6:7], v[12:13], v[2:3] op_sel_hi:[0,1,1]
	ds_write_b64 v94, v[16:17] offset:832
	ds_write_b64 v4, v[2:3] offset:3744
	ds_read_b64 v[2:3], v4 offset:3328
	ds_read_b64 v[6:7], v94 offset:1248
	s_waitcnt lgkmcnt(0)
	v_pk_add_f32 v[12:13], v[6:7], v[2:3]
	v_pk_add_f32 v[2:3], v[6:7], v[2:3] neg_lo:[0,1] neg_hi:[0,1]
	v_mov_b32_e32 v6, v13
	v_mov_b32_e32 v7, v2
	v_mov_b32_e32 v13, v3
	s_waitcnt vmcnt(1)
	v_pk_mul_f32 v[14:15], v[6:7], v[8:9] op_sel:[0,1]
	s_nop 0
	v_pk_add_f32 v[16:17], v[12:13], v[14:15] op_sel:[0,1] op_sel_hi:[1,0]
	v_mov_b32_e32 v13, v14
	v_mov_b32_e32 v2, v15
	v_pk_fma_f32 v[14:15], v[8:9], v[6:7], v[16:17] neg_lo:[1,0,0] neg_hi:[1,0,0]
	v_pk_fma_f32 v[16:17], v[8:9], v[6:7], v[16:17] op_sel_hi:[0,1,1]
	v_pk_add_f32 v[2:3], v[12:13], v[2:3] neg_lo:[0,1] neg_hi:[0,1]
	v_mov_b32_e32 v15, v17
	v_pk_fma_f32 v[2:3], v[8:9], v[6:7], v[2:3] op_sel_hi:[0,1,1]
	ds_write_b64 v94, v[14:15] offset:1248
	ds_write_b64 v4, v[2:3] offset:3328
	ds_read_b64 v[2:3], v4 offset:2912
	ds_read_b64 v[6:7], v94 offset:1664
	s_waitcnt lgkmcnt(0)
	v_pk_add_f32 v[8:9], v[6:7], v[2:3]
	v_pk_add_f32 v[2:3], v[6:7], v[2:3] neg_lo:[0,1] neg_hi:[0,1]
	v_mov_b32_e32 v6, v9
	v_mov_b32_e32 v7, v2
	;; [unrolled: 1-line block ×3, first 2 shown]
	s_waitcnt vmcnt(0)
	v_pk_mul_f32 v[12:13], v[6:7], v[10:11] op_sel:[0,1]
	s_nop 0
	v_pk_add_f32 v[14:15], v[8:9], v[12:13] op_sel:[0,1] op_sel_hi:[1,0]
	v_mov_b32_e32 v9, v12
	v_mov_b32_e32 v2, v13
	v_pk_fma_f32 v[12:13], v[10:11], v[6:7], v[14:15] neg_lo:[1,0,0] neg_hi:[1,0,0]
	v_pk_fma_f32 v[14:15], v[10:11], v[6:7], v[14:15] op_sel_hi:[0,1,1]
	v_pk_add_f32 v[2:3], v[8:9], v[2:3] neg_lo:[0,1] neg_hi:[0,1]
	v_mov_b32_e32 v13, v15
	v_pk_fma_f32 v[2:3], v[10:11], v[6:7], v[2:3] op_sel_hi:[0,1,1]
	ds_write_b64 v94, v[12:13] offset:1664
	ds_write_b64 v4, v[2:3] offset:2912
	s_and_saveexec_b64 s[4:5], vcc
	s_cbranch_execz .LBB0_21
; %bb.20:
	global_load_dwordx2 v[0:1], v[0:1], off offset:2080
	ds_read_b64 v[2:3], v4 offset:2496
	ds_read_b64 v[6:7], v94 offset:2080
	s_waitcnt lgkmcnt(0)
	v_pk_add_f32 v[8:9], v[6:7], v[2:3]
	v_pk_add_f32 v[2:3], v[6:7], v[2:3] neg_lo:[0,1] neg_hi:[0,1]
	v_mov_b32_e32 v6, v9
	v_mov_b32_e32 v7, v2
	;; [unrolled: 1-line block ×3, first 2 shown]
	s_waitcnt vmcnt(0)
	v_pk_mul_f32 v[10:11], v[6:7], v[0:1] op_sel:[0,1]
	s_nop 0
	v_pk_add_f32 v[12:13], v[8:9], v[10:11] op_sel:[0,1] op_sel_hi:[1,0]
	v_mov_b32_e32 v9, v10
	v_mov_b32_e32 v2, v11
	v_pk_fma_f32 v[10:11], v[0:1], v[6:7], v[12:13] neg_lo:[1,0,0] neg_hi:[1,0,0]
	v_pk_fma_f32 v[12:13], v[0:1], v[6:7], v[12:13] op_sel_hi:[0,1,1]
	v_pk_add_f32 v[2:3], v[8:9], v[2:3] neg_lo:[0,1] neg_hi:[0,1]
	v_mov_b32_e32 v11, v13
	v_pk_fma_f32 v[0:1], v[0:1], v[6:7], v[2:3] op_sel_hi:[0,1,1]
	ds_write_b64 v94, v[10:11] offset:2080
	ds_write_b64 v4, v[0:1] offset:2496
.LBB0_21:
	s_or_b64 exec, exec, s[4:5]
	s_waitcnt lgkmcnt(0)
	; wave barrier
	s_waitcnt lgkmcnt(0)
	s_waitcnt lgkmcnt(0)
	; wave barrier
	s_waitcnt lgkmcnt(0)
	ds_read2_b64 v[16:19], v94 offset0:88 offset1:132
	ds_read_b64 v[52:53], v94 offset:4224
	ds_read2_b64 v[4:7], v94 offset1:44
	v_add_u32_e32 v33, 0x800, v94
	ds_read2_b64 v[8:11], v33 offset0:184 offset1:228
	ds_read2_b64 v[20:23], v94 offset0:176 offset1:220
	;; [unrolled: 1-line block ×3, first 2 shown]
	s_mov_b32 s10, 0x3f116cb1
	s_mov_b32 s11, 0xbf52af12
	s_waitcnt lgkmcnt(3)
	v_pk_add_f32 v[40:41], v[52:53], v[6:7]
	v_pk_add_f32 v[42:43], v[6:7], v[52:53] neg_lo:[0,1] neg_hi:[0,1]
	s_mov_b32 s12, 0xbeb58ec6
	s_waitcnt lgkmcnt(2)
	v_pk_add_f32 v[36:37], v[10:11], v[16:17]
	v_pk_add_f32 v[38:39], v[16:17], v[10:11] neg_lo:[0,1] neg_hi:[0,1]
	v_mov_b32_e32 v2, v43
	v_mov_b32_e32 v3, v41
	s_mov_b32 s4, s11
	s_mov_b32 s5, s10
	;; [unrolled: 1-line block ×3, first 2 shown]
	v_pk_mul_f32 v[60:61], v[2:3], s[4:5]
	v_mov_b32_e32 v62, v40
	v_mov_b32_e32 v63, v42
	;; [unrolled: 1-line block ×4, first 2 shown]
	s_mov_b32 s4, s13
	s_mov_b32 s5, s12
	v_pk_fma_f32 v[58:59], v[62:63], s[10:11], v[60:61]
	v_pk_fma_f32 v[2:3], v[62:63], s[10:11], v[60:61] neg_lo:[0,0,1] neg_hi:[0,0,1]
	v_pk_mul_f32 v[64:65], v[24:25], s[4:5]
	v_mov_b32_e32 v68, v36
	v_mov_b32_e32 v69, v38
	;; [unrolled: 1-line block ×3, first 2 shown]
	v_pk_fma_f32 v[66:67], v[68:69], s[12:13], v[64:65]
	v_pk_fma_f32 v[24:25], v[68:69], s[12:13], v[64:65] neg_lo:[0,0,1] neg_hi:[0,0,1]
	s_mov_b32 s14, 0xbf788fa5
	v_pk_add_f32 v[0:1], v[8:9], v[18:19]
	v_pk_add_f32 v[34:35], v[18:19], v[8:9] neg_lo:[0,1] neg_hi:[0,1]
	v_pk_add_f32 v[2:3], v[4:5], v[2:3]
	v_mov_b32_e32 v25, v67
	s_mov_b32 s15, 0xbe750f2a
	v_pk_add_f32 v[2:3], v[24:25], v[2:3]
	v_mov_b32_e32 v24, v35
	v_mov_b32_e32 v25, v1
	s_mov_b32 s4, s15
	s_mov_b32 s5, s14
	v_pk_mul_f32 v[70:71], v[24:25], s[4:5]
	v_mov_b32_e32 v74, v0
	v_mov_b32_e32 v75, v34
	v_pk_fma_f32 v[72:73], v[74:75], s[14:15], v[70:71]
	v_pk_fma_f32 v[24:25], v[74:75], s[14:15], v[70:71] neg_lo:[0,0,1] neg_hi:[0,0,1]
	s_mov_b32 s16, 0xbf3f9e67
	v_mov_b32_e32 v25, v73
	s_waitcnt lgkmcnt(0)
	v_pk_add_f32 v[44:45], v[14:15], v[20:21]
	v_pk_add_f32 v[46:47], v[20:21], v[14:15] neg_lo:[0,1] neg_hi:[0,1]
	s_mov_b32 s17, 0x3f29c268
	v_pk_add_f32 v[2:3], v[24:25], v[2:3]
	v_mov_b32_e32 v24, v47
	v_mov_b32_e32 v25, v45
	s_mov_b32 s4, s17
	s_mov_b32 s5, s16
	v_pk_mul_f32 v[76:77], v[24:25], s[4:5]
	v_mov_b32_e32 v80, v44
	v_mov_b32_e32 v81, v46
	v_pk_fma_f32 v[78:79], v[80:81], s[16:17], v[76:77]
	v_pk_fma_f32 v[24:25], v[80:81], s[16:17], v[76:77] neg_lo:[0,0,1] neg_hi:[0,0,1]
	s_mov_b32 s18, 0x3df6dbef
	v_mov_b32_e32 v25, v79
	v_pk_add_f32 v[48:49], v[12:13], v[22:23]
	v_pk_add_f32 v[50:51], v[22:23], v[12:13] neg_lo:[0,1] neg_hi:[0,1]
	s_mov_b32 s19, 0x3f7e222b
	v_pk_add_f32 v[2:3], v[24:25], v[2:3]
	v_mov_b32_e32 v24, v51
	v_mov_b32_e32 v25, v49
	s_mov_b32 s4, s19
	s_mov_b32 s5, s18
	v_pk_mul_f32 v[82:83], v[24:25], s[4:5]
	ds_read2_b64 v[24:27], v33 offset0:8 offset1:52
	v_mov_b32_e32 v86, v48
	v_mov_b32_e32 v87, v50
	v_pk_fma_f32 v[84:85], v[86:87], s[18:19], v[82:83]
	v_pk_fma_f32 v[54:55], v[86:87], s[18:19], v[82:83] neg_lo:[0,0,1] neg_hi:[0,0,1]
	s_mov_b32 s20, 0x3f62ad3f
	v_mov_b32_e32 v55, v85
	v_pk_add_f32 v[2:3], v[54:55], v[2:3]
	s_waitcnt lgkmcnt(0)
	v_pk_add_f32 v[54:55], v[26:27], v[24:25]
	v_pk_add_f32 v[56:57], v[24:25], v[26:27] neg_lo:[0,1] neg_hi:[0,1]
	s_mov_b32 s21, 0x3eedf032
	v_mov_b32_e32 v88, v57
	v_mov_b32_e32 v89, v55
	s_mov_b32 s4, s21
	s_mov_b32 s5, s20
	v_pk_mul_f32 v[88:89], v[88:89], s[4:5]
	v_mov_b32_e32 v92, v54
	v_mov_b32_e32 v93, v56
	v_pk_fma_f32 v[90:91], v[92:93], s[20:21], v[88:89]
	v_pk_fma_f32 v[96:97], v[92:93], s[20:21], v[88:89] neg_lo:[0,0,1] neg_hi:[0,0,1]
	v_cmp_gt_u32_e32 vcc, 44, v32
	v_mov_b32_e32 v97, v91
	v_pk_add_f32 v[2:3], v[96:97], v[2:3]
	s_waitcnt lgkmcnt(0)
	; wave barrier
	s_and_saveexec_b64 s[4:5], vcc
	s_cbranch_execz .LBB0_23
; %bb.22:
	v_pk_add_f32 v[6:7], v[4:5], v[6:7]
	v_pk_mul_f32 v[62:63], v[62:63], s[10:11]
	v_pk_add_f32 v[6:7], v[6:7], v[16:17]
	v_pk_add_f32 v[60:61], v[60:61], v[62:63] neg_lo:[0,1] neg_hi:[0,1]
	v_pk_add_f32 v[6:7], v[6:7], v[18:19]
	v_mov_b32_e32 v59, v61
	v_pk_mul_f32 v[60:61], v[68:69], s[12:13]
	v_pk_add_f32 v[6:7], v[6:7], v[20:21]
	v_pk_mul_f32 v[62:63], v[74:75], s[14:15]
	v_pk_add_f32 v[60:61], v[64:65], v[60:61] neg_lo:[0,1] neg_hi:[0,1]
	v_pk_add_f32 v[6:7], v[6:7], v[22:23]
	v_pk_mul_f32 v[68:69], v[80:81], s[16:17]
	v_mov_b32_e32 v67, v61
	v_pk_add_f32 v[60:61], v[70:71], v[62:63] neg_lo:[0,1] neg_hi:[0,1]
	v_pk_add_f32 v[6:7], v[6:7], v[24:25]
	v_pk_mul_f32 v[74:75], v[86:87], s[18:19]
	v_mov_b32_e32 v73, v61
	;; [unrolled: 4-line block ×3, first 2 shown]
	v_pk_add_f32 v[60:61], v[82:83], v[74:75] neg_lo:[0,1] neg_hi:[0,1]
	s_mov_b32 s30, 0xbf7e222b
	v_pk_add_f32 v[6:7], v[6:7], v[12:13]
	v_pk_add_f32 v[58:59], v[4:5], v[58:59]
	v_mov_b32_e32 v85, v61
	v_pk_add_f32 v[60:61], v[88:89], v[80:81] neg_lo:[0,1] neg_hi:[0,1]
	v_pk_add_f32 v[6:7], v[6:7], v[14:15]
	s_mov_b32 s28, s15
	v_pk_add_f32 v[58:59], v[66:67], v[58:59]
	v_mov_b32_e32 v91, v61
	v_pk_mul_f32 v[60:61], v[42:43], s[30:31] op_sel_hi:[1,0]
	s_mov_b32 s22, 0xbeedf032
	v_pk_add_f32 v[6:7], v[6:7], v[8:9]
	v_pk_add_f32 v[58:59], v[72:73], v[58:59]
	v_pk_mul_f32 v[62:63], v[38:39], s[28:29] op_sel_hi:[1,0]
	v_pk_fma_f32 v[72:73], v[40:41], s[18:19], v[60:61] op_sel:[0,0,1] op_sel_hi:[1,0,0]
	v_pk_fma_f32 v[60:61], v[40:41], s[18:19], v[60:61] op_sel:[0,0,1] op_sel_hi:[1,0,0] neg_lo:[0,0,1] neg_hi:[0,0,1]
	v_pk_mul_f32 v[16:17], v[42:43], s[22:23] op_sel_hi:[1,0]
	v_pk_add_f32 v[6:7], v[6:7], v[10:11]
	s_mov_b32 s34, 0x3f6f5d39
	v_mov_b32_e32 v74, v72
	v_mov_b32_e32 v75, v61
	v_pk_fma_f32 v[76:77], v[36:37], s[14:15], v[62:63] op_sel:[0,0,1] op_sel_hi:[1,0,0]
	v_pk_fma_f32 v[62:63], v[36:37], s[14:15], v[62:63] op_sel:[0,0,1] op_sel_hi:[1,0,0] neg_lo:[0,0,1] neg_hi:[0,0,1]
	s_mov_b32 s26, s11
	v_pk_add_f32 v[96:97], v[6:7], v[52:53]
	v_pk_fma_f32 v[6:7], v[40:41], s[20:21], v[16:17] op_sel:[0,0,1] op_sel_hi:[1,0,0]
	v_pk_fma_f32 v[8:9], v[40:41], s[20:21], v[16:17] op_sel:[0,0,1] op_sel_hi:[1,0,0] neg_lo:[0,0,1] neg_hi:[0,0,1]
	v_pk_add_f32 v[58:59], v[78:79], v[58:59]
	v_pk_mul_f32 v[64:65], v[34:35], s[34:35] op_sel_hi:[1,0]
	v_pk_add_f32 v[74:75], v[4:5], v[74:75]
	v_mov_b32_e32 v78, v76
	v_mov_b32_e32 v79, v63
	v_pk_mul_f32 v[18:19], v[38:39], s[26:27] op_sel_hi:[1,0]
	v_mov_b32_e32 v10, v6
	v_mov_b32_e32 v11, v9
	s_mov_b32 s34, s21
	v_pk_add_f32 v[74:75], v[78:79], v[74:75]
	v_pk_fma_f32 v[78:79], v[0:1], s[12:13], v[64:65] op_sel:[0,0,1] op_sel_hi:[1,0,0]
	v_pk_fma_f32 v[64:65], v[0:1], s[12:13], v[64:65] op_sel:[0,0,1] op_sel_hi:[1,0,0] neg_lo:[0,0,1] neg_hi:[0,0,1]
	v_pk_add_f32 v[14:15], v[4:5], v[10:11]
	v_pk_fma_f32 v[10:11], v[36:37], s[10:11], v[18:19] op_sel:[0,0,1] op_sel_hi:[1,0,0]
	v_pk_fma_f32 v[12:13], v[36:37], s[10:11], v[18:19] op_sel:[0,0,1] op_sel_hi:[1,0,0] neg_lo:[0,0,1] neg_hi:[0,0,1]
	v_pk_mul_f32 v[66:67], v[46:47], s[34:35] op_sel_hi:[1,0]
	v_mov_b32_e32 v80, v78
	v_mov_b32_e32 v81, v65
	v_pk_mul_f32 v[20:21], v[34:35], s[30:31] op_sel_hi:[1,0]
	v_mov_b32_e32 v16, v10
	v_mov_b32_e32 v17, v13
	v_pk_add_f32 v[74:75], v[80:81], v[74:75]
	v_pk_fma_f32 v[80:81], v[44:45], s[20:21], v[66:67] op_sel:[0,0,1] op_sel_hi:[1,0,0]
	v_pk_fma_f32 v[66:67], v[44:45], s[20:21], v[66:67] op_sel:[0,0,1] op_sel_hi:[1,0,0] neg_lo:[0,0,1] neg_hi:[0,0,1]
	s_mov_b32 s22, s13
	v_pk_add_f32 v[18:19], v[16:17], v[14:15]
	v_pk_fma_f32 v[14:15], v[0:1], s[18:19], v[20:21] op_sel:[0,0,1] op_sel_hi:[1,0,0]
	v_pk_fma_f32 v[16:17], v[0:1], s[18:19], v[20:21] op_sel:[0,0,1] op_sel_hi:[1,0,0] neg_lo:[0,0,1] neg_hi:[0,0,1]
	v_pk_mul_f32 v[68:69], v[50:51], s[26:27] op_sel_hi:[1,0]
	v_mov_b32_e32 v82, v80
	v_mov_b32_e32 v83, v67
	v_pk_mul_f32 v[22:23], v[46:47], s[22:23] op_sel_hi:[1,0]
	v_mov_b32_e32 v20, v14
	v_mov_b32_e32 v21, v17
	s_mov_b32 s24, 0xbf29c268
	v_pk_add_f32 v[74:75], v[82:83], v[74:75]
	v_pk_fma_f32 v[82:83], v[48:49], s[10:11], v[68:69] op_sel:[0,0,1] op_sel_hi:[1,0,0]
	v_pk_fma_f32 v[68:69], v[48:49], s[10:11], v[68:69] op_sel:[0,0,1] op_sel_hi:[1,0,0] neg_lo:[0,0,1] neg_hi:[0,0,1]
	v_pk_add_f32 v[24:25], v[20:21], v[18:19]
	v_pk_fma_f32 v[18:19], v[44:45], s[12:13], v[22:23] op_sel:[0,0,1] op_sel_hi:[1,0,0]
	v_pk_fma_f32 v[20:21], v[44:45], s[12:13], v[22:23] op_sel:[0,0,1] op_sel_hi:[1,0,0] neg_lo:[0,0,1] neg_hi:[0,0,1]
	v_pk_add_f32 v[58:59], v[84:85], v[58:59]
	v_pk_mul_f32 v[70:71], v[56:57], s[24:25] op_sel_hi:[1,0]
	v_mov_b32_e32 v84, v82
	v_mov_b32_e32 v85, v69
	;; [unrolled: 1-line block ×4, first 2 shown]
	v_pk_add_f32 v[74:75], v[84:85], v[74:75]
	v_pk_fma_f32 v[84:85], v[54:55], s[16:17], v[70:71] op_sel:[0,0,1] op_sel_hi:[1,0,0]
	v_pk_fma_f32 v[70:71], v[54:55], s[16:17], v[70:71] op_sel:[0,0,1] op_sel_hi:[1,0,0] neg_lo:[0,0,1] neg_hi:[0,0,1]
	v_pk_add_f32 v[26:27], v[22:23], v[24:25]
	v_pk_mul_f32 v[24:25], v[50:51], s[24:25] op_sel_hi:[1,0]
	s_movk_i32 s23, 0x60
	v_mov_b32_e32 v86, v84
	v_mov_b32_e32 v87, v71
	v_pk_fma_f32 v[22:23], v[48:49], s[16:17], v[24:25] op_sel:[0,0,1] op_sel_hi:[1,0,0]
	v_pk_fma_f32 v[24:25], v[48:49], s[16:17], v[24:25] op_sel:[0,0,1] op_sel_hi:[1,0,0] neg_lo:[0,0,1] neg_hi:[0,0,1]
	v_mad_u32_u24 v6, v32, s23, v94
	v_pk_add_f32 v[58:59], v[90:91], v[58:59]
	v_pk_add_f32 v[74:75], v[86:87], v[74:75]
	v_mov_b32_e32 v52, v22
	v_mov_b32_e32 v53, v25
	ds_write2_b64 v6, v[58:59], v[74:75] offset0:2 offset1:3
	v_pk_mul_f32 v[58:59], v[42:43], s[22:23] op_sel_hi:[1,0]
	s_mov_b32 s36, s17
	v_pk_add_f32 v[98:99], v[52:53], v[26:27]
	v_pk_mul_f32 v[52:53], v[56:57], s[28:29] op_sel_hi:[1,0]
	v_pk_mul_f32 v[74:75], v[38:39], s[36:37] op_sel_hi:[1,0]
	v_pk_fma_f32 v[86:87], v[40:41], s[12:13], v[58:59] op_sel:[0,0,1] op_sel_hi:[1,0,0]
	v_pk_fma_f32 v[58:59], v[40:41], s[12:13], v[58:59] op_sel:[0,0,1] op_sel_hi:[1,0,0] neg_lo:[0,0,1] neg_hi:[0,0,1]
	v_pk_fma_f32 v[26:27], v[54:55], s[14:15], v[52:53] op_sel:[0,0,1] op_sel_hi:[1,0,0]
	v_pk_fma_f32 v[52:53], v[54:55], s[14:15], v[52:53] op_sel:[0,0,1] op_sel_hi:[1,0,0] neg_lo:[0,0,1] neg_hi:[0,0,1]
	v_mov_b32_e32 v88, v86
	v_mov_b32_e32 v89, v59
	v_pk_fma_f32 v[90:91], v[36:37], s[16:17], v[74:75] op_sel:[0,0,1] op_sel_hi:[1,0,0]
	v_pk_fma_f32 v[74:75], v[36:37], s[16:17], v[74:75] op_sel:[0,0,1] op_sel_hi:[1,0,0] neg_lo:[0,0,1] neg_hi:[0,0,1]
	v_mov_b32_e32 v100, v26
	v_mov_b32_e32 v101, v53
	v_pk_add_f32 v[88:89], v[4:5], v[88:89]
	v_mov_b32_e32 v92, v90
	v_mov_b32_e32 v93, v75
	v_pk_add_f32 v[98:99], v[100:101], v[98:99]
	v_pk_add_f32 v[88:89], v[92:93], v[88:89]
	v_pk_mul_f32 v[92:93], v[34:35], s[34:35] op_sel_hi:[1,0]
	ds_write2_b64 v6, v[96:97], v[98:99] offset1:1
	v_pk_fma_f32 v[96:97], v[0:1], s[20:21], v[92:93] op_sel:[0,0,1] op_sel_hi:[1,0,0]
	v_pk_fma_f32 v[92:93], v[0:1], s[20:21], v[92:93] op_sel:[0,0,1] op_sel_hi:[1,0,0] neg_lo:[0,0,1] neg_hi:[0,0,1]
	v_mov_b32_e32 v98, v96
	v_mov_b32_e32 v99, v93
	v_pk_add_f32 v[88:89], v[98:99], v[88:89]
	v_pk_mul_f32 v[98:99], v[46:47], s[30:31] op_sel_hi:[1,0]
	s_mov_b32 s30, 0x3e750f2a
	v_pk_fma_f32 v[100:101], v[44:45], s[18:19], v[98:99] op_sel:[0,0,1] op_sel_hi:[1,0,0]
	v_pk_fma_f32 v[98:99], v[44:45], s[18:19], v[98:99] op_sel:[0,0,1] op_sel_hi:[1,0,0] neg_lo:[0,0,1] neg_hi:[0,0,1]
	v_mov_b32_e32 v102, v100
	v_mov_b32_e32 v103, v99
	v_pk_add_f32 v[88:89], v[102:103], v[88:89]
	v_pk_mul_f32 v[102:103], v[50:51], s[30:31] op_sel_hi:[1,0]
	s_mov_b32 s36, 0x3f52af12
	;; [unrolled: 7-line block ×3, first 2 shown]
	v_pk_fma_f32 v[108:109], v[54:55], s[10:11], v[106:107] op_sel:[0,0,1] op_sel_hi:[1,0,0]
	v_pk_fma_f32 v[106:107], v[54:55], s[10:11], v[106:107] op_sel:[0,0,1] op_sel_hi:[1,0,0] neg_lo:[0,0,1] neg_hi:[0,0,1]
	v_mov_b32_e32 v110, v108
	v_mov_b32_e32 v111, v107
	v_pk_add_f32 v[88:89], v[110:111], v[88:89]
	v_pk_mul_f32 v[110:111], v[42:43], s[24:25] op_sel_hi:[1,0]
	v_pk_mul_f32 v[116:117], v[38:39], s[38:39] op_sel_hi:[1,0]
	v_pk_fma_f32 v[112:113], v[40:41], s[16:17], v[110:111] op_sel:[0,0,1] op_sel_hi:[1,0,0]
	v_pk_fma_f32 v[110:111], v[40:41], s[16:17], v[110:111] op_sel:[0,0,1] op_sel_hi:[1,0,0] neg_lo:[0,0,1] neg_hi:[0,0,1]
	v_mov_b32_e32 v114, v112
	v_mov_b32_e32 v115, v111
	v_pk_fma_f32 v[118:119], v[36:37], s[18:19], v[116:117] op_sel:[0,0,1] op_sel_hi:[1,0,0]
	v_pk_fma_f32 v[116:117], v[36:37], s[18:19], v[116:117] op_sel:[0,0,1] op_sel_hi:[1,0,0] neg_lo:[0,0,1] neg_hi:[0,0,1]
	v_pk_add_f32 v[114:115], v[4:5], v[114:115]
	v_mov_b32_e32 v120, v118
	v_mov_b32_e32 v121, v117
	v_pk_add_f32 v[114:115], v[120:121], v[114:115]
	v_pk_mul_f32 v[120:121], v[34:35], s[26:27] op_sel_hi:[1,0]
	v_pk_mul_f32 v[42:43], v[42:43], s[28:29] op_sel_hi:[1,0]
	v_pk_fma_f32 v[122:123], v[0:1], s[10:11], v[120:121] op_sel:[0,0,1] op_sel_hi:[1,0,0]
	v_pk_fma_f32 v[120:121], v[0:1], s[10:11], v[120:121] op_sel:[0,0,1] op_sel_hi:[1,0,0] neg_lo:[0,0,1] neg_hi:[0,0,1]
	v_mov_b32_e32 v124, v122
	v_mov_b32_e32 v125, v121
	v_pk_add_f32 v[114:115], v[124:125], v[114:115]
	v_pk_mul_f32 v[124:125], v[46:47], s[30:31] op_sel_hi:[1,0]
	v_pk_mul_f32 v[38:39], v[38:39], s[34:35] op_sel_hi:[1,0]
	v_pk_fma_f32 v[126:127], v[44:45], s[14:15], v[124:125] op_sel:[0,0,1] op_sel_hi:[1,0,0]
	v_pk_fma_f32 v[124:125], v[44:45], s[14:15], v[124:125] op_sel:[0,0,1] op_sel_hi:[1,0,0] neg_lo:[0,0,1] neg_hi:[0,0,1]
	;; [unrolled: 7-line block ×3, first 2 shown]
	v_mov_b32_e32 v132, v130
	v_mov_b32_e32 v133, v129
	v_pk_add_f32 v[114:115], v[132:133], v[114:115]
	v_pk_mul_f32 v[132:133], v[56:57], s[22:23] op_sel_hi:[1,0]
	v_mov_b32_e32 v111, v113
	v_pk_fma_f32 v[134:135], v[54:55], s[12:13], v[132:133] op_sel:[0,0,1] op_sel_hi:[1,0,0]
	v_pk_fma_f32 v[132:133], v[54:55], s[12:13], v[132:133] op_sel:[0,0,1] op_sel_hi:[1,0,0] neg_lo:[0,0,1] neg_hi:[0,0,1]
	v_mov_b32_e32 v136, v134
	v_mov_b32_e32 v137, v133
	v_pk_add_f32 v[114:115], v[136:137], v[114:115]
	ds_write2_b64 v6, v[88:89], v[114:115] offset0:4 offset1:5
	v_pk_fma_f32 v[88:89], v[40:41], s[14:15], v[42:43] op_sel:[0,0,1] op_sel_hi:[1,0,0]
	v_pk_fma_f32 v[40:41], v[40:41], s[14:15], v[42:43] op_sel:[0,0,1] op_sel_hi:[1,0,0] neg_lo:[0,0,1] neg_hi:[0,0,1]
	v_pk_fma_f32 v[42:43], v[36:37], s[20:21], v[38:39] op_sel:[0,0,1] op_sel_hi:[1,0,0]
	v_pk_fma_f32 v[36:37], v[36:37], s[20:21], v[38:39] op_sel:[0,0,1] op_sel_hi:[1,0,0] neg_lo:[0,0,1] neg_hi:[0,0,1]
	v_mov_b32_e32 v38, v88
	v_mov_b32_e32 v39, v41
	v_pk_add_f32 v[38:39], v[4:5], v[38:39]
	v_mov_b32_e32 v114, v42
	v_mov_b32_e32 v115, v37
	v_pk_add_f32 v[38:39], v[114:115], v[38:39]
	v_pk_fma_f32 v[114:115], v[0:1], s[16:17], v[34:35] op_sel:[0,0,1] op_sel_hi:[1,0,0]
	v_pk_fma_f32 v[0:1], v[0:1], s[16:17], v[34:35] op_sel:[0,0,1] op_sel_hi:[1,0,0] neg_lo:[0,0,1] neg_hi:[0,0,1]
	v_mov_b32_e32 v34, v114
	v_mov_b32_e32 v35, v1
	v_pk_add_f32 v[34:35], v[34:35], v[38:39]
	v_pk_mul_f32 v[38:39], v[46:47], s[36:37] op_sel_hi:[1,0]
	v_mov_b32_e32 v41, v89
	v_pk_fma_f32 v[46:47], v[44:45], s[10:11], v[38:39] op_sel:[0,0,1] op_sel_hi:[1,0,0]
	v_pk_fma_f32 v[38:39], v[44:45], s[10:11], v[38:39] op_sel:[0,0,1] op_sel_hi:[1,0,0] neg_lo:[0,0,1] neg_hi:[0,0,1]
	v_mov_b32_e32 v44, v46
	v_mov_b32_e32 v45, v39
	v_pk_add_f32 v[34:35], v[44:45], v[34:35]
	v_pk_mul_f32 v[44:45], v[50:51], s[22:23] op_sel_hi:[1,0]
	v_mov_b32_e32 v37, v43
	v_pk_fma_f32 v[50:51], v[48:49], s[12:13], v[44:45] op_sel:[0,0,1] op_sel_hi:[1,0,0]
	v_pk_fma_f32 v[44:45], v[48:49], s[12:13], v[44:45] op_sel:[0,0,1] op_sel_hi:[1,0,0] neg_lo:[0,0,1] neg_hi:[0,0,1]
	v_pk_add_f32 v[40:41], v[4:5], v[40:41]
	v_mov_b32_e32 v48, v50
	v_mov_b32_e32 v49, v45
	v_pk_add_f32 v[36:37], v[36:37], v[40:41]
	v_mov_b32_e32 v1, v115
	v_pk_add_f32 v[34:35], v[48:49], v[34:35]
	v_pk_mul_f32 v[48:49], v[56:57], s[38:39] op_sel_hi:[1,0]
	v_pk_add_f32 v[0:1], v[0:1], v[36:37]
	v_mov_b32_e32 v39, v47
	v_pk_fma_f32 v[56:57], v[54:55], s[18:19], v[48:49] op_sel:[0,0,1] op_sel_hi:[1,0,0]
	v_pk_fma_f32 v[48:49], v[54:55], s[18:19], v[48:49] op_sel:[0,0,1] op_sel_hi:[1,0,0] neg_lo:[0,0,1] neg_hi:[0,0,1]
	v_pk_add_f32 v[0:1], v[38:39], v[0:1]
	v_mov_b32_e32 v45, v51
	v_mov_b32_e32 v54, v56
	;; [unrolled: 1-line block ×3, first 2 shown]
	v_pk_add_f32 v[0:1], v[44:45], v[0:1]
	v_mov_b32_e32 v49, v57
	v_pk_add_f32 v[34:35], v[54:55], v[34:35]
	v_pk_add_f32 v[0:1], v[48:49], v[0:1]
	v_mov_b32_e32 v59, v87
	ds_write2_b64 v6, v[34:35], v[0:1] offset0:6 offset1:7
	v_mov_b32_e32 v117, v119
	v_pk_add_f32 v[0:1], v[4:5], v[110:111]
	v_pk_add_f32 v[34:35], v[4:5], v[58:59]
	v_mov_b32_e32 v75, v91
	v_pk_add_f32 v[0:1], v[116:117], v[0:1]
	v_mov_b32_e32 v121, v123
	;; [unrolled: 2-line block ×9, first 2 shown]
	v_pk_add_f32 v[0:1], v[132:133], v[0:1]
	v_pk_add_f32 v[34:35], v[106:107], v[34:35]
	v_mov_b32_e32 v61, v73
	ds_write2_b64 v6, v[0:1], v[34:35] offset0:8 offset1:9
	v_pk_add_f32 v[0:1], v[4:5], v[60:61]
	v_mov_b32_e32 v63, v77
	v_pk_add_f32 v[0:1], v[62:63], v[0:1]
	v_mov_b32_e32 v65, v79
	;; [unrolled: 2-line block ×6, first 2 shown]
	ds_write2_b64 v6, v[0:1], v[2:3] offset0:10 offset1:11
	v_pk_add_f32 v[0:1], v[4:5], v[8:9]
	v_mov_b32_e32 v13, v11
	v_pk_add_f32 v[0:1], v[12:13], v[0:1]
	v_mov_b32_e32 v17, v15
	;; [unrolled: 2-line block ×5, first 2 shown]
	v_pk_add_f32 v[0:1], v[52:53], v[0:1]
	ds_write_b64 v6, v[0:1] offset:96
.LBB0_23:
	s_or_b64 exec, exec, s[4:5]
	s_movk_i32 s4, 0x4f
	v_mul_lo_u16_sdwa v0, v32, s4 dst_sel:DWORD dst_unused:UNUSED_PAD src0_sel:BYTE_0 src1_sel:DWORD
	v_lshrrev_b16_e32 v95, 10, v0
	v_mul_lo_u16_e32 v0, 13, v95
	v_sub_u16_e32 v114, v32, v0
	v_mov_b32_e32 v0, 10
	v_mul_u32_u24_sdwa v0, v114, v0 dst_sel:DWORD dst_unused:UNUSED_PAD src0_sel:BYTE_0 src1_sel:DWORD
	v_lshlrev_b32_e32 v0, 3, v0
	s_waitcnt lgkmcnt(0)
	; wave barrier
	s_waitcnt lgkmcnt(0)
	global_load_dwordx4 v[16:19], v0, s[8:9] offset:64
	global_load_dwordx4 v[20:23], v0, s[8:9]
	global_load_dwordx4 v[24:27], v0, s[8:9] offset:16
	global_load_dwordx4 v[12:15], v0, s[8:9] offset:32
	;; [unrolled: 1-line block ×3, first 2 shown]
	ds_read2_b64 v[4:7], v94 offset1:52
	ds_read2_b64 v[34:37], v94 offset0:104 offset1:156
	v_add_u32_e32 v42, 0x400, v94
	ds_read2_b64 v[38:41], v33 offset0:160 offset1:212
	ds_read_b64 v[0:1], v94 offset:4160
	ds_read2_b64 v[66:69], v33 offset0:56 offset1:108
	ds_read2_b64 v[46:49], v42 offset0:80 offset1:132
	s_mov_b32 s10, 0xbf0a6770
	s_waitcnt lgkmcnt(4)
	v_mov_b32_e32 v42, v35
	s_waitcnt lgkmcnt(2)
	v_mov_b32_e32 v70, v1
	s_mov_b32 s11, 0x3f575c64
	s_mov_b32 s18, s11
	;; [unrolled: 1-line block ×3, first 2 shown]
	v_mov_b32_e32 v52, v41
	s_mov_b32 s20, 0xbf68dda4
	s_mov_b32 s14, 0xbf27a4f4
	;; [unrolled: 1-line block ×15, first 2 shown]
	s_waitcnt lgkmcnt(0)
	; wave barrier
	s_waitcnt lgkmcnt(0)
	s_mov_b32 s30, s5
	s_mov_b32 s31, s4
	v_cmp_gt_u32_e32 vcc, 39, v32
	s_waitcnt vmcnt(4)
	v_pk_mul_f32 v[50:51], v[0:1], v[18:19]
	s_nop 0
	v_mov_b32_e32 v50, v19
	s_waitcnt vmcnt(3)
	v_mov_b32_e32 v54, v23
	v_mov_b32_e32 v55, v22
	v_pk_mul_f32 v[22:23], v[22:23], v[34:35] op_sel_hi:[1,0]
	s_waitcnt vmcnt(2)
	v_pk_mul_f32 v[60:61], v[26:27], v[46:47] op_sel:[0,1]
	s_waitcnt vmcnt(1)
	v_pk_mul_f32 v[64:65], v[12:13], v[48:49] op_sel:[0,1]
	;; [unrolled: 2-line block ×3, first 2 shown]
	v_pk_mul_f32 v[78:79], v[20:21], v[6:7] op_sel:[0,1]
	v_mov_b32_e32 v84, v51
	v_pk_mul_f32 v[86:87], v[0:1], v[50:51]
	v_pk_mul_f32 v[44:45], v[40:41], v[16:17]
	v_mov_b32_e32 v72, v15
	v_pk_fma_f32 v[42:43], v[54:55], v[42:43], v[22:23]
	v_pk_fma_f32 v[22:23], v[54:55], v[34:35], v[22:23] op_sel:[0,1,0] neg_lo:[0,0,1] neg_hi:[0,0,1]
	v_pk_fma_f32 v[58:59], v[26:27], v[46:47], v[60:61] op_sel:[0,0,1] op_sel_hi:[1,0,0]
	v_pk_fma_f32 v[62:63], v[12:13], v[48:49], v[64:65] op_sel:[0,0,1] op_sel_hi:[1,0,0]
	v_pk_fma_f32 v[64:65], v[12:13], v[48:49], v[64:65] op_sel:[0,0,1] op_sel_hi:[1,0,0] neg_lo:[1,0,0] neg_hi:[1,0,0]
	v_pk_fma_f32 v[54:55], v[68:69], v[8:9], v[74:75] op_sel:[0,0,1] op_sel_hi:[1,0,0]
	v_pk_fma_f32 v[50:51], v[20:21], v[6:7], v[78:79] op_sel:[0,0,1] op_sel_hi:[1,1,0]
	v_pk_fma_f32 v[20:21], v[20:21], v[6:7], v[78:79] op_sel:[0,0,1] op_sel_hi:[1,0,0] neg_lo:[1,0,0] neg_hi:[1,0,0]
	v_pk_fma_f32 v[48:49], v[0:1], v[18:19], v[84:85]
	v_pk_fma_f32 v[0:1], v[70:71], v[18:19], v[86:87] neg_lo:[0,0,1] neg_hi:[0,0,1]
	v_mov_b32_e32 v44, v17
	v_pk_mul_f32 v[56:57], v[24:25], v[36:37] op_sel:[0,1]
	v_mov_b32_e32 v76, v11
	v_pk_mul_f32 v[12:13], v[66:67], v[72:73] op_sel_hi:[1,0]
	v_pk_add_f32 v[6:7], v[58:59], v[54:55]
	v_pk_add_f32 v[72:73], v[58:59], v[54:55] neg_lo:[0,1] neg_hi:[0,1]
	v_mov_b32_e32 v51, v21
	v_mov_b32_e32 v49, v0
	;; [unrolled: 1-line block ×3, first 2 shown]
	v_pk_mul_f32 v[82:83], v[40:41], v[44:45]
	v_pk_fma_f32 v[44:45], v[24:25], v[36:37], v[56:57] op_sel:[0,0,1] op_sel_hi:[1,1,0]
	v_pk_fma_f32 v[24:25], v[24:25], v[36:37], v[56:57] op_sel:[0,0,1] op_sel_hi:[1,0,0] neg_lo:[1,0,0] neg_hi:[1,0,0]
	v_pk_fma_f32 v[56:57], v[68:69], v[8:9], v[74:75] op_sel:[0,0,1] op_sel_hi:[1,0,0] neg_lo:[0,0,1] neg_hi:[0,0,1]
	v_pk_mul_f32 v[8:9], v[38:39], v[76:77] op_sel_hi:[1,0]
	v_pk_fma_f32 v[68:69], v[66:67], v[14:15], v[12:13] op_sel:[0,0,1] op_sel_hi:[1,0,0]
	v_pk_fma_f32 v[70:71], v[66:67], v[14:15], v[12:13] op_sel:[0,0,1] op_sel_hi:[1,0,0] neg_lo:[0,0,1] neg_hi:[0,0,1]
	v_mov_b32_e32 v7, v72
	v_pk_add_f32 v[12:13], v[50:51], v[48:49] neg_lo:[0,1] neg_hi:[0,1]
	v_pk_fma_f32 v[60:61], v[26:27], v[46:47], v[60:61] op_sel:[0,0,1] op_sel_hi:[1,0,0] neg_lo:[1,0,0] neg_hi:[1,0,0]
	v_pk_fma_f32 v[46:47], v[40:41], v[16:17], v[80:81]
	v_pk_fma_f32 v[16:17], v[52:53], v[16:17], v[82:83] neg_lo:[0,0,1] neg_hi:[0,0,1]
	v_pk_fma_f32 v[52:53], v[38:39], v[10:11], v[8:9] op_sel:[0,0,1] op_sel_hi:[1,1,0]
	v_pk_fma_f32 v[8:9], v[38:39], v[10:11], v[8:9] op_sel:[0,0,1] op_sel_hi:[1,0,0] neg_lo:[0,0,1] neg_hi:[0,0,1]
	v_pk_mul_f32 v[80:81], v[6:7], s[18:19]
	v_pk_add_f32 v[10:11], v[50:51], v[48:49]
	s_mov_b32 s18, 0x3ed4b147
	v_pk_mul_f32 v[0:1], v[12:13], s[20:21] op_sel:[1,0] op_sel_hi:[0,0]
	v_mov_b32_e32 v43, v23
	v_mov_b32_e32 v53, v9
	v_mov_b32_e32 v47, v16
	v_pk_fma_f32 v[8:9], v[10:11], s[18:19], v[0:1] op_sel_hi:[1,0,1]
	v_pk_fma_f32 v[22:23], v[10:11], s[18:19], v[0:1] op_sel_hi:[1,0,1] neg_lo:[0,0,1] neg_hi:[0,0,1]
	v_mov_b32_e32 v45, v25
	v_mov_b32_e32 v0, v8
	;; [unrolled: 1-line block ×3, first 2 shown]
	v_pk_add_f32 v[16:17], v[42:43], v[46:47] neg_lo:[0,1] neg_hi:[0,1]
	v_pk_add_f32 v[20:21], v[0:1], v[4:5]
	v_pk_add_f32 v[14:15], v[42:43], v[46:47]
	v_pk_mul_f32 v[0:1], v[16:17], s[24:25] op_sel_hi:[1,0]
	v_pk_add_f32 v[18:19], v[44:45], v[52:53] neg_lo:[0,1] neg_hi:[0,1]
	v_pk_fma_f32 v[26:27], v[14:15], s[14:15], v[0:1] op_sel:[0,0,1] op_sel_hi:[1,0,0]
	v_pk_fma_f32 v[24:25], v[14:15], s[14:15], v[0:1] op_sel:[0,0,1] op_sel_hi:[1,0,0] neg_lo:[0,0,1] neg_hi:[0,0,1]
	v_pk_add_f32 v[0:1], v[44:45], v[52:53]
	v_pk_mul_f32 v[38:39], v[18:19], s[22:23] op_sel_hi:[1,0]
	v_mov_b32_e32 v74, v26
	v_mov_b32_e32 v75, v25
	v_pk_fma_f32 v[40:41], v[0:1], s[26:27], v[38:39] op_sel:[0,0,1] op_sel_hi:[1,0,0]
	v_pk_fma_f32 v[38:39], v[0:1], s[26:27], v[38:39] op_sel:[0,0,1] op_sel_hi:[1,0,0] neg_lo:[0,0,1] neg_hi:[0,0,1]
	v_pk_add_f32 v[20:21], v[74:75], v[20:21]
	v_mov_b32_e32 v74, v40
	v_mov_b32_e32 v75, v39
	v_pk_add_f32 v[82:83], v[60:61], v[56:57]
	v_pk_add_f32 v[84:85], v[64:65], v[70:71]
	v_pk_add_f32 v[34:35], v[60:61], v[56:57] neg_lo:[0,1] neg_hi:[0,1]
	v_pk_add_f32 v[78:79], v[64:65], v[70:71] neg_lo:[0,1] neg_hi:[0,1]
	v_pk_add_f32 v[74:75], v[74:75], v[20:21]
	v_mov_b32_e32 v20, v85
	v_mov_b32_e32 v21, v83
	v_pk_add_f32 v[66:67], v[62:63], v[68:69]
	v_pk_fma_f32 v[76:77], v[34:35], s[10:11], v[80:81] op_sel:[1,0,0] neg_lo:[1,0,0] neg_hi:[1,0,0]
	v_mov_b32_e32 v34, v79
	v_pk_mul_f32 v[86:87], v[20:21], s[12:13]
	v_pk_add_f32 v[20:21], v[62:63], v[68:69] neg_lo:[0,1] neg_hi:[0,1]
	v_mov_b32_e32 v37, v6
	v_mov_b32_e32 v36, v66
	;; [unrolled: 1-line block ×4, first 2 shown]
	v_pk_mul_f32 v[90:91], v[34:35], s[16:17]
	v_pk_fma_f32 v[96:97], v[88:89], s[16:17], v[86:87] neg_lo:[1,0,0] neg_hi:[1,0,0]
	v_pk_fma_f32 v[92:93], v[36:37], s[12:13], v[90:91]
	v_pk_mul_f32 v[98:99], v[88:89], s[16:17]
	v_mov_b32_e32 v96, v93
	v_pk_add_f32 v[96:97], v[96:97], v[74:75]
	v_pk_fma_f32 v[74:75], v[36:37], s[12:13], v[90:91] neg_lo:[0,0,1] neg_hi:[0,0,1]
	v_mov_b32_e32 v91, v98
	v_mov_b32_e32 v21, v86
	v_pk_add_f32 v[90:91], v[20:21], v[90:91] neg_lo:[0,1] neg_hi:[0,1]
	v_mov_b32_e32 v82, v35
	v_mov_b32_e32 v93, v91
	v_pk_add_f32 v[90:91], v[92:93], v[96:97]
	v_pk_fma_f32 v[92:93], v[82:83], s[10:11], v[80:81]
	v_pk_fma_f32 v[80:81], v[82:83], s[10:11], v[80:81] neg_lo:[0,0,1] neg_hi:[0,0,1]
	v_mov_b32_e32 v77, v93
	v_mov_b32_e32 v93, v81
	;; [unrolled: 1-line block ×5, first 2 shown]
	v_pk_mul_f32 v[96:97], v[80:81], s[14:15]
	v_mov_b32_e32 v100, v14
	v_pk_fma_f32 v[78:79], v[78:79], s[28:29], v[96:97] op_sel:[1,0,0] neg_lo:[1,0,0] neg_hi:[1,0,0]
	v_pk_fma_f32 v[98:99], v[84:85], s[28:29], v[96:97]
	v_pk_fma_f32 v[96:97], v[84:85], s[28:29], v[96:97] neg_lo:[0,0,1] neg_hi:[0,0,1]
	v_mov_b32_e32 v101, v16
	s_mov_b32 s28, s5
	s_mov_b32 s29, s22
	v_mov_b32_e32 v79, v99
	v_mov_b32_e32 v99, v97
	;; [unrolled: 1-line block ×4, first 2 shown]
	s_mov_b32 s23, s5
	v_pk_mul_f32 v[100:101], v[100:101], s[28:29]
	s_mov_b32 s12, 0xbf7d64f0
	v_pk_fma_f32 v[102:103], v[96:97], s[22:23], v[100:101] neg_lo:[1,0,0] neg_hi:[1,0,0]
	v_pk_fma_f32 v[104:105], v[96:97], s[22:23], v[100:101]
	v_pk_fma_f32 v[96:97], v[96:97], s[22:23], v[100:101] neg_lo:[0,0,1] neg_hi:[0,0,1]
	v_mov_b32_e32 v103, v105
	v_mov_b32_e32 v105, v97
	s_mov_b32 s22, s13
	v_pk_mul_f32 v[96:97], v[12:13], s[12:13] op_sel:[1,0] op_sel_hi:[0,0]
	v_pk_fma_f32 v[100:101], v[10:11], s[22:23], v[96:97] op_sel_hi:[1,0,1]
	v_pk_fma_f32 v[96:97], v[10:11], s[22:23], v[96:97] op_sel_hi:[1,0,1] neg_lo:[0,0,1] neg_hi:[0,0,1]
	v_mov_b32_e32 v106, v100
	v_mov_b32_e32 v107, v97
	v_pk_add_f32 v[106:107], v[106:107], v[4:5]
	v_mov_b32_e32 v108, v0
	v_mov_b32_e32 v109, v18
	s_mov_b32 s19, s34
	v_pk_add_f32 v[104:105], v[104:105], v[106:107]
	v_mov_b32_e32 v106, v19
	v_mov_b32_e32 v107, v1
	s_mov_b32 s35, s18
	v_pk_mul_f32 v[108:109], v[108:109], s[18:19]
	v_mov_b32_e32 v8, 3
	v_pk_fma_f32 v[110:111], v[106:107], s[34:35], v[108:109] neg_lo:[1,0,0] neg_hi:[1,0,0]
	v_pk_fma_f32 v[112:113], v[106:107], s[34:35], v[108:109]
	v_pk_fma_f32 v[106:107], v[106:107], s[34:35], v[108:109] neg_lo:[0,0,1] neg_hi:[0,0,1]
	v_mov_b32_e32 v111, v113
	v_mov_b32_e32 v113, v107
	v_pk_add_f32 v[104:105], v[112:113], v[104:105]
	v_lshlrev_b32_sdwa v8, v8, v114 dst_sel:DWORD dst_unused:UNUSED_PAD src0_sel:DWORD src1_sel:BYTE_0
	v_pk_add_f32 v[92:93], v[92:93], v[104:105]
	v_mul_u32_u24_e32 v21, 0x478, v95
	v_pk_add_f32 v[92:93], v[98:99], v[92:93]
	v_add3_u32 v69, 0, v21, v8
	ds_write2_b64 v69, v[90:91], v[92:93] offset0:26 offset1:39
	v_pk_mul_f32 v[90:91], v[12:13], s[24:25] op_sel:[1,0] op_sel_hi:[0,0]
	s_mov_b32 s28, s17
	v_pk_fma_f32 v[92:93], v[10:11], s[14:15], v[90:91] op_sel_hi:[1,0,1]
	v_pk_fma_f32 v[90:91], v[10:11], s[14:15], v[90:91] op_sel_hi:[1,0,1] neg_lo:[0,0,1] neg_hi:[0,0,1]
	v_pk_mul_f32 v[104:105], v[16:17], s[28:29] op_sel_hi:[1,0]
	v_mov_b32_e32 v98, v92
	v_mov_b32_e32 v99, v91
	v_pk_fma_f32 v[106:107], v[14:15], s[22:23], v[104:105] op_sel:[0,0,1] op_sel_hi:[1,0,0]
	v_pk_fma_f32 v[104:105], v[14:15], s[22:23], v[104:105] op_sel:[0,0,1] op_sel_hi:[1,0,0] neg_lo:[0,0,1] neg_hi:[0,0,1]
	v_pk_add_f32 v[98:99], v[98:99], v[4:5]
	v_mov_b32_e32 v108, v106
	v_mov_b32_e32 v109, v105
	v_pk_add_f32 v[98:99], v[108:109], v[98:99]
	s_mov_b32 s28, s11
	v_pk_mul_f32 v[108:109], v[18:19], s[10:11] op_sel_hi:[1,0]
	v_pk_mul_f32 v[128:129], v[16:17], s[16:17] op_sel_hi:[1,0]
	v_pk_fma_f32 v[112:113], v[0:1], s[28:29], v[108:109] op_sel:[0,0,1] op_sel_hi:[1,0,0]
	v_pk_fma_f32 v[108:109], v[0:1], s[28:29], v[108:109] op_sel:[0,0,1] op_sel_hi:[1,0,0] neg_lo:[0,0,1] neg_hi:[0,0,1]
	v_mov_b32_e32 v114, v112
	v_mov_b32_e32 v115, v109
	v_pk_add_f32 v[98:99], v[114:115], v[98:99]
	v_pk_mul_f32 v[114:115], v[82:83], s[4:5]
	v_pk_fma_f32 v[130:131], v[14:15], s[28:29], v[128:129] op_sel:[0,0,1] op_sel_hi:[1,0,0]
	v_pk_fma_f32 v[116:117], v[6:7], s[30:31], v[114:115]
	v_pk_fma_f32 v[118:119], v[6:7], s[30:31], v[114:115] neg_lo:[1,0,0] neg_hi:[1,0,0]
	v_pk_fma_f32 v[128:129], v[14:15], s[28:29], v[128:129] op_sel:[0,0,1] op_sel_hi:[1,0,0] neg_lo:[0,0,1] neg_hi:[0,0,1]
	v_mov_b32_e32 v118, v116
	v_pk_add_f32 v[98:99], v[118:119], v[98:99]
	v_pk_mul_f32 v[118:119], v[84:85], s[34:35]
	v_pk_add_f32 v[50:51], v[50:51], v[4:5]
	v_pk_fma_f32 v[120:121], v[80:81], s[18:19], v[118:119]
	v_pk_fma_f32 v[122:123], v[80:81], s[18:19], v[118:119] neg_lo:[1,0,0] neg_hi:[1,0,0]
	v_mov_b32_e32 v132, v130
	v_mov_b32_e32 v122, v120
	v_pk_add_f32 v[98:99], v[122:123], v[98:99]
	v_pk_mul_f32 v[122:123], v[12:13], s[4:5] op_sel:[1,0] op_sel_hi:[0,0]
	v_pk_fma_f32 v[124:125], v[10:11], s[26:27], v[122:123] op_sel_hi:[1,0,1]
	v_pk_fma_f32 v[122:123], v[10:11], s[26:27], v[122:123] op_sel_hi:[1,0,1] neg_lo:[0,0,1] neg_hi:[0,0,1]
	v_mov_b32_e32 v126, v124
	v_mov_b32_e32 v127, v123
	v_pk_add_f32 v[126:127], v[126:127], v[4:5]
	v_mov_b32_e32 v133, v129
	v_pk_add_f32 v[42:43], v[50:51], v[42:43]
	v_pk_add_f32 v[126:127], v[132:133], v[126:127]
	v_pk_mul_f32 v[132:133], v[18:19], s[24:25] op_sel_hi:[1,0]
	v_mov_b32_e32 v60, v58
	v_pk_add_f32 v[42:43], v[42:43], v[44:45]
	v_pk_fma_f32 v[134:135], v[0:1], s[14:15], v[132:133] op_sel:[0,0,1] op_sel_hi:[1,0,0]
	v_pk_fma_f32 v[132:133], v[0:1], s[14:15], v[132:133] op_sel:[0,0,1] op_sel_hi:[1,0,0] neg_lo:[0,0,1] neg_hi:[0,0,1]
	v_mov_b32_e32 v64, v62
	v_pk_add_f32 v[42:43], v[42:43], v[60:61]
	v_mov_b32_e32 v136, v134
	v_mov_b32_e32 v137, v133
	;; [unrolled: 1-line block ×3, first 2 shown]
	v_pk_add_f32 v[42:43], v[42:43], v[64:65]
	v_pk_add_f32 v[126:127], v[136:137], v[126:127]
	v_pk_mul_f32 v[136:137], v[82:83], s[34:35]
	v_mov_b32_e32 v56, v54
	v_pk_add_f32 v[42:43], v[42:43], v[70:71]
	v_pk_fma_f32 v[138:139], v[6:7], s[18:19], v[136:137]
	v_pk_fma_f32 v[140:141], v[6:7], s[18:19], v[136:137] neg_lo:[1,0,0] neg_hi:[1,0,0]
	v_pk_add_f32 v[42:43], v[42:43], v[56:57]
	v_mov_b32_e32 v123, v125
	v_mov_b32_e32 v140, v138
	;; [unrolled: 1-line block ×4, first 2 shown]
	v_pk_add_f32 v[42:43], v[42:43], v[52:53]
	v_mov_b32_e32 v129, v131
	v_pk_add_f32 v[50:51], v[122:123], v[4:5]
	v_pk_add_f32 v[126:127], v[140:141], v[126:127]
	s_mov_b32 s24, s13
	s_mov_b32 s25, s12
	v_pk_mul_f32 v[140:141], v[84:85], s[12:13]
	v_pk_mul_f32 v[58:59], v[54:55], s[14:15]
	v_pk_add_f32 v[42:43], v[42:43], v[46:47]
	v_pk_fma_f32 v[46:47], v[6:7], s[18:19], v[136:137] neg_lo:[0,0,1] neg_hi:[0,0,1]
	v_mov_b32_e32 v133, v135
	v_pk_add_f32 v[50:51], v[128:129], v[50:51]
	v_pk_fma_f32 v[142:143], v[80:81], s[24:25], v[140:141]
	v_mov_b32_e32 v21, v58
	v_pk_add_f32 v[42:43], v[42:43], v[48:49]
	v_mov_b32_e32 v47, v139
	v_pk_fma_f32 v[48:49], v[80:81], s[24:25], v[140:141] neg_lo:[0,0,1] neg_hi:[0,0,1]
	v_pk_add_f32 v[50:51], v[132:133], v[50:51]
	v_pk_fma_f32 v[58:59], v[54:55], s[14:15], v[20:21] neg_lo:[1,0,0] neg_hi:[1,0,0]
	v_pk_fma_f32 v[54:55], v[54:55], s[14:15], v[20:21]
	v_mov_b32_e32 v21, v85
	v_mov_b32_e32 v49, v143
	v_pk_add_f32 v[46:47], v[46:47], v[50:51]
	v_mov_b32_e32 v25, v27
	v_pk_add_f32 v[46:47], v[48:49], v[46:47]
	v_pk_mul_f32 v[48:49], v[20:21], s[4:5]
	v_pk_fma_f32 v[62:63], v[88:89], s[16:17], v[86:87]
	v_mov_b32_e32 v23, v48
	v_pk_fma_f32 v[52:53], v[20:21], s[4:5], v[22:23]
	v_mov_b32_e32 v23, v9
	v_pk_add_f32 v[8:9], v[22:23], v[4:5]
	v_mov_b32_e32 v39, v41
	v_pk_add_f32 v[8:9], v[24:25], v[8:9]
	v_mov_b32_e32 v22, v75
	v_pk_add_f32 v[8:9], v[38:39], v[8:9]
	v_mov_b32_e32 v23, v63
	v_pk_mul_f32 v[12:13], v[12:13], s[10:11] op_sel:[1,0] op_sel_hi:[0,0]
	v_pk_add_f32 v[8:9], v[22:23], v[8:9]
	v_pk_fma_f32 v[22:23], v[10:11], s[28:29], v[12:13] op_sel_hi:[1,0,1]
	v_pk_fma_f32 v[10:11], v[10:11], s[28:29], v[12:13] op_sel_hi:[1,0,1] neg_lo:[0,0,1] neg_hi:[0,0,1]
	v_mov_b32_e32 v97, v101
	v_mov_b32_e32 v91, v93
	;; [unrolled: 1-line block ×4, first 2 shown]
	v_pk_mul_f32 v[16:17], v[16:17], s[20:21] op_sel_hi:[1,0]
	v_pk_add_f32 v[44:45], v[96:97], v[4:5]
	v_pk_add_f32 v[56:57], v[90:91], v[4:5]
	;; [unrolled: 1-line block ×5, first 2 shown]
	v_pk_mul_f32 v[12:13], v[14:15], s[18:19] op_sel_hi:[1,0]
	v_pk_fma_f32 v[24:25], v[14:15], s[18:19], v[16:17] op_sel:[0,0,1] op_sel_hi:[1,0,0] neg_lo:[0,0,1] neg_hi:[0,0,1]
	v_pk_fma_f32 v[14:15], v[14:15], s[18:19], v[16:17] op_sel:[0,0,1] op_sel_hi:[1,0,0]
	v_pk_mul_f32 v[18:19], v[18:19], s[12:13] op_sel_hi:[1,0]
	v_mov_b32_e32 v25, v15
	v_pk_mul_f32 v[14:15], v[0:1], s[22:23] op_sel_hi:[1,0]
	v_mov_b32_e32 v39, v12
	v_mov_b32_e32 v38, v14
	;; [unrolled: 1-line block ×7, first 2 shown]
	v_pk_add_f32 v[38:39], v[38:39], v[40:41]
	v_pk_add_f32 v[12:13], v[12:13], v[14:15] neg_lo:[0,1] neg_hi:[0,1]
	v_pk_fma_f32 v[14:15], v[0:1], s[22:23], v[18:19] op_sel:[0,0,1] op_sel_hi:[1,0,0] neg_lo:[0,0,1] neg_hi:[0,0,1]
	v_pk_fma_f32 v[0:1], v[0:1], s[22:23], v[18:19] op_sel:[0,0,1] op_sel_hi:[1,0,0]
	s_mov_b32 s17, s14
	s_mov_b32 s14, s4
	v_mov_b32_e32 v0, v39
	s_mov_b32 s16, s5
	v_pk_add_f32 v[44:45], v[102:103], v[44:45]
	v_pk_mul_f32 v[34:35], v[34:35], s[14:15]
	v_mov_b32_e32 v15, v1
	v_pk_add_f32 v[0:1], v[0:1], v[22:23]
	v_pk_add_f32 v[44:45], v[110:111], v[44:45]
	v_pk_fma_f32 v[50:51], v[6:7], s[30:31], v[114:115] neg_lo:[0,0,1] neg_hi:[0,0,1]
	v_pk_fma_f32 v[6:7], v[36:37], s[16:17], v[34:35]
	v_mov_b32_e32 v105, v107
	v_pk_add_f32 v[10:11], v[12:13], v[10:11]
	v_pk_add_f32 v[4:5], v[24:25], v[4:5]
	;; [unrolled: 1-line block ×3, first 2 shown]
	v_mov_b32_e32 v1, v12
	v_pk_mul_f32 v[66:67], v[66:67], s[16:17]
	v_pk_add_f32 v[44:45], v[76:77], v[44:45]
	v_mov_b32_e32 v26, v7
	v_mov_b32_e32 v109, v113
	v_pk_add_f32 v[56:57], v[104:105], v[56:57]
	v_pk_add_f32 v[10:11], v[0:1], v[10:11]
	;; [unrolled: 1-line block ×3, first 2 shown]
	v_mov_b32_e32 v4, v16
	v_mov_b32_e32 v5, v48
	v_pk_fma_f32 v[144:145], v[80:81], s[24:25], v[140:141] neg_lo:[1,0,0] neg_hi:[1,0,0]
	v_mov_b32_e32 v67, v59
	v_pk_fma_f32 v[36:37], v[36:37], s[16:17], v[34:35] neg_lo:[0,0,1] neg_hi:[0,0,1]
	v_mov_b32_e32 v51, v117
	v_pk_add_f32 v[6:7], v[78:79], v[44:45]
	v_pk_fma_f32 v[44:45], v[80:81], s[18:19], v[118:119] neg_lo:[0,0,1] neg_hi:[0,0,1]
	v_pk_add_f32 v[56:57], v[108:109], v[56:57]
	v_pk_add_f32 v[12:13], v[26:27], v[16:17]
	v_pk_fma_f32 v[4:5], v[20:21], s[4:5], v[4:5] neg_lo:[0,0,1] neg_hi:[0,0,1]
	v_mov_b32_e32 v35, v11
	v_mov_b32_e32 v144, v142
	;; [unrolled: 1-line block ×3, first 2 shown]
	v_pk_add_f32 v[50:51], v[50:51], v[56:57]
	v_mov_b32_e32 v75, v62
	v_mov_b32_e32 v54, v37
	;; [unrolled: 1-line block ×3, first 2 shown]
	v_pk_add_f32 v[4:5], v[66:67], v[34:35]
	v_pk_add_f32 v[126:127], v[144:145], v[126:127]
	;; [unrolled: 1-line block ×5, first 2 shown]
	v_mov_b32_e32 v37, v53
	v_pk_add_f32 v[4:5], v[4:5], v[12:13]
	ds_write2_b64 v69, v[98:99], v[126:127] offset0:52 offset1:65
	ds_write2_b64 v69, v[46:47], v[44:45] offset0:78 offset1:91
	;; [unrolled: 1-line block ×3, first 2 shown]
	v_pk_add_f32 v[0:1], v[36:37], v[0:1]
	ds_write2_b64 v69, v[42:43], v[4:5] offset1:13
	ds_write_b64 v69, v[0:1] offset:1040
	s_waitcnt lgkmcnt(0)
	; wave barrier
	s_waitcnt lgkmcnt(0)
	ds_read2_b64 v[10:13], v94 offset1:52
	ds_read2_b64 v[14:17], v94 offset0:143 offset1:195
	ds_read2_b64 v[18:21], v33 offset0:30 offset1:82
	;; [unrolled: 1-line block ×3, first 2 shown]
	s_and_saveexec_b64 s[4:5], vcc
	s_cbranch_execz .LBB0_25
; %bb.24:
	v_add_u32_e32 v0, 0xc00, v94
	ds_read2_b64 v[6:9], v94 offset0:104 offset1:247
	ds_read2_b64 v[0:3], v0 offset0:6 offset1:149
.LBB0_25:
	s_or_b64 exec, exec, s[4:5]
	v_mul_u32_u24_e32 v4, 3, v32
	v_lshlrev_b32_e32 v33, 3, v4
	global_load_dwordx4 v[34:37], v33, s[8:9] offset:1040
	global_load_dwordx2 v[4:5], v33, s[8:9] offset:1056
	global_load_dwordx4 v[38:41], v33, s[8:9] offset:2288
	global_load_dwordx2 v[26:27], v33, s[8:9] offset:2304
	v_add_u32_e32 v33, 0x800, v94
	s_waitcnt lgkmcnt(0)
	; wave barrier
	s_waitcnt vmcnt(3) lgkmcnt(0)
	v_pk_mul_f32 v[42:43], v[34:35], v[14:15] op_sel:[0,1]
	v_pk_mul_f32 v[44:45], v[36:37], v[18:19] op_sel:[0,1]
	s_waitcnt vmcnt(2)
	v_pk_mul_f32 v[46:47], v[4:5], v[22:23] op_sel:[0,1]
	s_waitcnt vmcnt(1)
	v_pk_mul_f32 v[48:49], v[38:39], v[16:17] op_sel:[0,1]
	v_pk_mul_f32 v[50:51], v[40:41], v[20:21] op_sel:[0,1]
	s_waitcnt vmcnt(0)
	v_pk_mul_f32 v[52:53], v[26:27], v[24:25] op_sel:[0,1]
	v_pk_fma_f32 v[54:55], v[34:35], v[14:15], v[42:43] op_sel:[0,0,1] op_sel_hi:[1,1,0]
	v_pk_fma_f32 v[14:15], v[34:35], v[14:15], v[42:43] op_sel:[0,0,1] op_sel_hi:[1,0,0] neg_lo:[1,0,0] neg_hi:[1,0,0]
	v_pk_fma_f32 v[34:35], v[36:37], v[18:19], v[44:45] op_sel:[0,0,1] op_sel_hi:[1,1,0]
	v_pk_fma_f32 v[18:19], v[36:37], v[18:19], v[44:45] op_sel:[0,0,1] op_sel_hi:[1,0,0] neg_lo:[1,0,0] neg_hi:[1,0,0]
	;; [unrolled: 2-line block ×6, first 2 shown]
	v_mov_b32_e32 v55, v15
	v_mov_b32_e32 v35, v19
	;; [unrolled: 1-line block ×6, first 2 shown]
	v_pk_add_f32 v[4:5], v[10:11], v[34:35] neg_lo:[0,1] neg_hi:[0,1]
	v_pk_add_f32 v[14:15], v[54:55], v[36:37] neg_lo:[0,1] neg_hi:[0,1]
	;; [unrolled: 1-line block ×4, first 2 shown]
	v_pk_fma_f32 v[10:11], v[10:11], 2.0, v[4:5] op_sel_hi:[1,0,1] neg_lo:[0,0,1] neg_hi:[0,0,1]
	v_pk_fma_f32 v[20:21], v[54:55], 2.0, v[14:15] op_sel_hi:[1,0,1] neg_lo:[0,0,1] neg_hi:[0,0,1]
	;; [unrolled: 1-line block ×4, first 2 shown]
	v_pk_add_f32 v[24:25], v[4:5], v[14:15] op_sel:[0,1] op_sel_hi:[1,0]
	v_pk_add_f32 v[14:15], v[4:5], v[14:15] op_sel:[0,1] op_sel_hi:[1,0] neg_lo:[0,1] neg_hi:[0,1]
	v_pk_add_f32 v[26:27], v[16:17], v[18:19] op_sel:[0,1] op_sel_hi:[1,0]
	v_pk_add_f32 v[18:19], v[16:17], v[18:19] op_sel:[0,1] op_sel_hi:[1,0] neg_lo:[0,1] neg_hi:[0,1]
	v_pk_add_f32 v[20:21], v[10:11], v[20:21] neg_lo:[0,1] neg_hi:[0,1]
	v_pk_add_f32 v[22:23], v[12:13], v[22:23] neg_lo:[0,1] neg_hi:[0,1]
	v_mov_b32_e32 v25, v15
	v_mov_b32_e32 v27, v19
	v_pk_fma_f32 v[10:11], v[10:11], 2.0, v[20:21] op_sel_hi:[1,0,1] neg_lo:[0,0,1] neg_hi:[0,0,1]
	v_pk_fma_f32 v[12:13], v[12:13], 2.0, v[22:23] op_sel_hi:[1,0,1] neg_lo:[0,0,1] neg_hi:[0,0,1]
	;; [unrolled: 1-line block ×4, first 2 shown]
	ds_write2_b64 v33, v[20:21], v[22:23] offset0:30 offset1:82
	ds_write2_b64 v94, v[10:11], v[12:13] offset1:52
	ds_write2_b64 v94, v[4:5], v[14:15] offset0:143 offset1:195
	ds_write2_b64 v33, v[24:25], v[26:27] offset0:173 offset1:225
	s_and_saveexec_b64 s[4:5], vcc
	s_cbranch_execz .LBB0_27
; %bb.26:
	v_add_u32_e32 v4, 0x68, v32
	v_subrev_u32_e32 v5, 39, v32
	v_cndmask_b32_e32 v4, v5, v4, vcc
	v_mul_i32_i24_e32 v4, 3, v4
	v_mov_b32_e32 v5, 0
	v_lshl_add_u64 v[4:5], v[4:5], 3, s[8:9]
	global_load_dwordx4 v[10:13], v[4:5], off offset:1040
	global_load_dwordx2 v[14:15], v[4:5], off offset:1056
	v_mov_b32_e32 v4, v1
	v_mov_b32_e32 v16, v9
	v_add_u32_e32 v22, 0xc00, v94
	s_waitcnt vmcnt(1)
	v_pk_mul_f32 v[4:5], v[4:5], v[12:13] op_sel_hi:[0,1]
	v_pk_mul_f32 v[16:17], v[16:17], v[10:11] op_sel_hi:[0,1]
	s_waitcnt vmcnt(0)
	v_pk_mul_f32 v[18:19], v[2:3], v[14:15] op_sel:[1,0]
	v_pk_fma_f32 v[20:21], v[0:1], v[12:13], v[4:5] op_sel:[0,0,1] op_sel_hi:[1,1,0]
	v_pk_fma_f32 v[0:1], v[0:1], v[12:13], v[4:5] op_sel:[0,0,1] op_sel_hi:[0,1,0] neg_lo:[1,0,0] neg_hi:[1,0,0]
	v_pk_fma_f32 v[4:5], v[8:9], v[10:11], v[16:17] op_sel:[0,0,1] op_sel_hi:[1,1,0]
	v_pk_fma_f32 v[8:9], v[8:9], v[10:11], v[16:17] op_sel:[0,0,1] op_sel_hi:[0,1,0] neg_lo:[1,0,0] neg_hi:[1,0,0]
	;; [unrolled: 2-line block ×3, first 2 shown]
	v_mov_b32_e32 v21, v1
	v_mov_b32_e32 v5, v9
	;; [unrolled: 1-line block ×3, first 2 shown]
	v_pk_add_f32 v[0:1], v[6:7], v[20:21] neg_lo:[0,1] neg_hi:[0,1]
	v_pk_add_f32 v[2:3], v[4:5], v[10:11] neg_lo:[0,1] neg_hi:[0,1]
	v_pk_fma_f32 v[6:7], v[6:7], 2.0, v[0:1] op_sel_hi:[1,0,1] neg_lo:[0,0,1] neg_hi:[0,0,1]
	v_pk_fma_f32 v[4:5], v[4:5], 2.0, v[2:3] op_sel_hi:[1,0,1] neg_lo:[0,0,1] neg_hi:[0,0,1]
	v_pk_add_f32 v[8:9], v[0:1], v[2:3] op_sel:[0,1] op_sel_hi:[1,0]
	v_pk_add_f32 v[2:3], v[0:1], v[2:3] op_sel:[0,1] op_sel_hi:[1,0] neg_lo:[0,1] neg_hi:[0,1]
	v_pk_add_f32 v[4:5], v[6:7], v[4:5] neg_lo:[0,1] neg_hi:[0,1]
	v_mov_b32_e32 v9, v3
	v_pk_fma_f32 v[2:3], v[6:7], 2.0, v[4:5] op_sel_hi:[1,0,1] neg_lo:[0,0,1] neg_hi:[0,0,1]
	v_pk_fma_f32 v[0:1], v[0:1], 2.0, v[8:9] op_sel_hi:[1,0,1] neg_lo:[0,0,1] neg_hi:[0,0,1]
	ds_write2_b64 v94, v[2:3], v[0:1] offset0:104 offset1:247
	ds_write2_b64 v22, v[4:5], v[8:9] offset0:6 offset1:149
.LBB0_27:
	s_or_b64 exec, exec, s[4:5]
	s_waitcnt lgkmcnt(0)
	; wave barrier
	s_waitcnt lgkmcnt(0)
	s_and_saveexec_b64 s[4:5], s[0:1]
	s_cbranch_execz .LBB0_29
; %bb.28:
	v_mul_lo_u32 v0, s3, v30
	v_mul_lo_u32 v1, s2, v31
	v_mad_u64_u32 v[4:5], s[0:1], s2, v30, 0
	v_lshl_add_u32 v10, v32, 3, 0
	v_add3_u32 v5, v5, v1, v0
	ds_read2_b64 v[0:3], v10 offset1:52
	v_lshl_add_u64 v[4:5], v[4:5], 3, s[6:7]
	v_mov_b32_e32 v33, 0
	v_lshl_add_u64 v[8:9], v[28:29], 3, v[4:5]
	v_lshl_add_u64 v[4:5], v[32:33], 3, v[8:9]
	s_waitcnt lgkmcnt(0)
	global_store_dwordx2 v[4:5], v[0:1], off
	ds_read2_b64 v[4:7], v10 offset0:104 offset1:156
	v_add_u32_e32 v0, 52, v32
	v_mov_b32_e32 v1, v33
	v_lshl_add_u64 v[0:1], v[0:1], 3, v[8:9]
	global_store_dwordx2 v[0:1], v[2:3], off
	v_add_u32_e32 v0, 0x68, v32
	v_mov_b32_e32 v1, v33
	v_lshl_add_u64 v[0:1], v[0:1], 3, v[8:9]
	s_waitcnt lgkmcnt(0)
	global_store_dwordx2 v[0:1], v[4:5], off
	v_add_u32_e32 v0, 0x9c, v32
	v_mov_b32_e32 v1, v33
	v_lshl_add_u64 v[4:5], v[0:1], 3, v[8:9]
	v_add_u32_e32 v0, 0x400, v10
	ds_read2_b64 v[0:3], v0 offset0:80 offset1:132
	global_store_dwordx2 v[4:5], v[6:7], off
	v_add_u32_e32 v4, 0xd0, v32
	v_mov_b32_e32 v5, v33
	v_lshl_add_u64 v[4:5], v[4:5], 3, v[8:9]
	v_add_u32_e32 v11, 0x800, v10
	s_waitcnt lgkmcnt(0)
	global_store_dwordx2 v[4:5], v[0:1], off
	ds_read2_b64 v[4:7], v11 offset0:56 offset1:108
	v_add_u32_e32 v0, 0x104, v32
	v_mov_b32_e32 v1, v33
	v_lshl_add_u64 v[0:1], v[0:1], 3, v[8:9]
	global_store_dwordx2 v[0:1], v[2:3], off
	v_add_u32_e32 v0, 0x138, v32
	v_mov_b32_e32 v1, v33
	v_lshl_add_u64 v[0:1], v[0:1], 3, v[8:9]
	s_waitcnt lgkmcnt(0)
	global_store_dwordx2 v[0:1], v[4:5], off
	v_add_u32_e32 v0, 0x16c, v32
	v_mov_b32_e32 v1, v33
	v_lshl_add_u64 v[4:5], v[0:1], 3, v[8:9]
	ds_read2_b64 v[0:3], v11 offset0:160 offset1:212
	global_store_dwordx2 v[4:5], v[6:7], off
	v_add_u32_e32 v4, 0x1a0, v32
	v_mov_b32_e32 v5, v33
	v_lshl_add_u64 v[4:5], v[4:5], 3, v[8:9]
	s_waitcnt lgkmcnt(0)
	global_store_dwordx2 v[4:5], v[0:1], off
	ds_read_b64 v[4:5], v10 offset:4160
	v_add_u32_e32 v0, 0x1d4, v32
	v_mov_b32_e32 v1, v33
	v_lshl_add_u64 v[0:1], v[0:1], 3, v[8:9]
	v_add_u32_e32 v32, 0x208, v32
	global_store_dwordx2 v[0:1], v[2:3], off
	v_lshl_add_u64 v[0:1], v[32:33], 3, v[8:9]
	s_waitcnt lgkmcnt(0)
	global_store_dwordx2 v[0:1], v[4:5], off
.LBB0_29:
	s_endpgm
	.section	.rodata,"a",@progbits
	.p2align	6, 0x0
	.amdhsa_kernel fft_rtc_back_len572_factors_13_11_4_wgs_52_tpt_52_sp_op_CI_CI_unitstride_sbrr_C2R_dirReg
		.amdhsa_group_segment_fixed_size 0
		.amdhsa_private_segment_fixed_size 0
		.amdhsa_kernarg_size 104
		.amdhsa_user_sgpr_count 2
		.amdhsa_user_sgpr_dispatch_ptr 0
		.amdhsa_user_sgpr_queue_ptr 0
		.amdhsa_user_sgpr_kernarg_segment_ptr 1
		.amdhsa_user_sgpr_dispatch_id 0
		.amdhsa_user_sgpr_kernarg_preload_length 0
		.amdhsa_user_sgpr_kernarg_preload_offset 0
		.amdhsa_user_sgpr_private_segment_size 0
		.amdhsa_uses_dynamic_stack 0
		.amdhsa_enable_private_segment 0
		.amdhsa_system_sgpr_workgroup_id_x 1
		.amdhsa_system_sgpr_workgroup_id_y 0
		.amdhsa_system_sgpr_workgroup_id_z 0
		.amdhsa_system_sgpr_workgroup_info 0
		.amdhsa_system_vgpr_workitem_id 0
		.amdhsa_next_free_vgpr 146
		.amdhsa_next_free_sgpr 40
		.amdhsa_accum_offset 148
		.amdhsa_reserve_vcc 1
		.amdhsa_float_round_mode_32 0
		.amdhsa_float_round_mode_16_64 0
		.amdhsa_float_denorm_mode_32 3
		.amdhsa_float_denorm_mode_16_64 3
		.amdhsa_dx10_clamp 1
		.amdhsa_ieee_mode 1
		.amdhsa_fp16_overflow 0
		.amdhsa_tg_split 0
		.amdhsa_exception_fp_ieee_invalid_op 0
		.amdhsa_exception_fp_denorm_src 0
		.amdhsa_exception_fp_ieee_div_zero 0
		.amdhsa_exception_fp_ieee_overflow 0
		.amdhsa_exception_fp_ieee_underflow 0
		.amdhsa_exception_fp_ieee_inexact 0
		.amdhsa_exception_int_div_zero 0
	.end_amdhsa_kernel
	.text
.Lfunc_end0:
	.size	fft_rtc_back_len572_factors_13_11_4_wgs_52_tpt_52_sp_op_CI_CI_unitstride_sbrr_C2R_dirReg, .Lfunc_end0-fft_rtc_back_len572_factors_13_11_4_wgs_52_tpt_52_sp_op_CI_CI_unitstride_sbrr_C2R_dirReg
                                        ; -- End function
	.section	.AMDGPU.csdata,"",@progbits
; Kernel info:
; codeLenInByte = 9024
; NumSgprs: 46
; NumVgprs: 146
; NumAgprs: 0
; TotalNumVgprs: 146
; ScratchSize: 0
; MemoryBound: 0
; FloatMode: 240
; IeeeMode: 1
; LDSByteSize: 0 bytes/workgroup (compile time only)
; SGPRBlocks: 5
; VGPRBlocks: 18
; NumSGPRsForWavesPerEU: 46
; NumVGPRsForWavesPerEU: 146
; AccumOffset: 148
; Occupancy: 3
; WaveLimiterHint : 1
; COMPUTE_PGM_RSRC2:SCRATCH_EN: 0
; COMPUTE_PGM_RSRC2:USER_SGPR: 2
; COMPUTE_PGM_RSRC2:TRAP_HANDLER: 0
; COMPUTE_PGM_RSRC2:TGID_X_EN: 1
; COMPUTE_PGM_RSRC2:TGID_Y_EN: 0
; COMPUTE_PGM_RSRC2:TGID_Z_EN: 0
; COMPUTE_PGM_RSRC2:TIDIG_COMP_CNT: 0
; COMPUTE_PGM_RSRC3_GFX90A:ACCUM_OFFSET: 36
; COMPUTE_PGM_RSRC3_GFX90A:TG_SPLIT: 0
	.text
	.p2alignl 6, 3212836864
	.fill 256, 4, 3212836864
	.type	__hip_cuid_ca611edc2d67a766,@object ; @__hip_cuid_ca611edc2d67a766
	.section	.bss,"aw",@nobits
	.globl	__hip_cuid_ca611edc2d67a766
__hip_cuid_ca611edc2d67a766:
	.byte	0                               ; 0x0
	.size	__hip_cuid_ca611edc2d67a766, 1

	.ident	"AMD clang version 19.0.0git (https://github.com/RadeonOpenCompute/llvm-project roc-6.4.0 25133 c7fe45cf4b819c5991fe208aaa96edf142730f1d)"
	.section	".note.GNU-stack","",@progbits
	.addrsig
	.addrsig_sym __hip_cuid_ca611edc2d67a766
	.amdgpu_metadata
---
amdhsa.kernels:
  - .agpr_count:     0
    .args:
      - .actual_access:  read_only
        .address_space:  global
        .offset:         0
        .size:           8
        .value_kind:     global_buffer
      - .offset:         8
        .size:           8
        .value_kind:     by_value
      - .actual_access:  read_only
        .address_space:  global
        .offset:         16
        .size:           8
        .value_kind:     global_buffer
      - .actual_access:  read_only
        .address_space:  global
        .offset:         24
        .size:           8
        .value_kind:     global_buffer
      - .actual_access:  read_only
        .address_space:  global
        .offset:         32
        .size:           8
        .value_kind:     global_buffer
      - .offset:         40
        .size:           8
        .value_kind:     by_value
      - .actual_access:  read_only
        .address_space:  global
        .offset:         48
        .size:           8
        .value_kind:     global_buffer
      - .actual_access:  read_only
        .address_space:  global
        .offset:         56
        .size:           8
        .value_kind:     global_buffer
      - .offset:         64
        .size:           4
        .value_kind:     by_value
      - .actual_access:  read_only
        .address_space:  global
        .offset:         72
        .size:           8
        .value_kind:     global_buffer
      - .actual_access:  read_only
        .address_space:  global
        .offset:         80
        .size:           8
        .value_kind:     global_buffer
      - .actual_access:  read_only
        .address_space:  global
        .offset:         88
        .size:           8
        .value_kind:     global_buffer
      - .actual_access:  write_only
        .address_space:  global
        .offset:         96
        .size:           8
        .value_kind:     global_buffer
    .group_segment_fixed_size: 0
    .kernarg_segment_align: 8
    .kernarg_segment_size: 104
    .language:       OpenCL C
    .language_version:
      - 2
      - 0
    .max_flat_workgroup_size: 52
    .name:           fft_rtc_back_len572_factors_13_11_4_wgs_52_tpt_52_sp_op_CI_CI_unitstride_sbrr_C2R_dirReg
    .private_segment_fixed_size: 0
    .sgpr_count:     46
    .sgpr_spill_count: 0
    .symbol:         fft_rtc_back_len572_factors_13_11_4_wgs_52_tpt_52_sp_op_CI_CI_unitstride_sbrr_C2R_dirReg.kd
    .uniform_work_group_size: 1
    .uses_dynamic_stack: false
    .vgpr_count:     146
    .vgpr_spill_count: 0
    .wavefront_size: 64
amdhsa.target:   amdgcn-amd-amdhsa--gfx950
amdhsa.version:
  - 1
  - 2
...

	.end_amdgpu_metadata
